;; amdgpu-corpus repo=ROCm/rocFFT kind=compiled arch=gfx950 opt=O3
	.text
	.amdgcn_target "amdgcn-amd-amdhsa--gfx950"
	.amdhsa_code_object_version 6
	.protected	bluestein_single_back_len1190_dim1_dp_op_CI_CI ; -- Begin function bluestein_single_back_len1190_dim1_dp_op_CI_CI
	.globl	bluestein_single_back_len1190_dim1_dp_op_CI_CI
	.p2align	8
	.type	bluestein_single_back_len1190_dim1_dp_op_CI_CI,@function
bluestein_single_back_len1190_dim1_dp_op_CI_CI: ; @bluestein_single_back_len1190_dim1_dp_op_CI_CI
; %bb.0:
	s_load_dwordx4 s[4:7], s[0:1], 0x28
	v_mul_u32_u24_e32 v1, 0x304, v0
	v_lshrrev_b32_e32 v2, 16, v1
	v_mad_u64_u32 v[4:5], s[2:3], s2, 3, v[2:3]
	v_mov_b32_e32 v3, 0
	v_mov_b32_e32 v5, v3
	s_waitcnt lgkmcnt(0)
	v_cmp_gt_u64_e32 vcc, s[4:5], v[4:5]
	s_and_saveexec_b64 s[2:3], vcc
	s_cbranch_execz .LBB0_23
; %bb.1:
	v_mul_lo_u16_e32 v1, 0x55, v2
	s_mov_b32 s2, 0xaaaaaaab
	v_sub_u16_e32 v2, v0, v1
	v_mul_hi_u32 v0, v4, s2
	v_lshrrev_b32_e32 v0, 1, v0
	s_load_dwordx2 s[12:13], s[0:1], 0x0
	s_load_dwordx2 s[14:15], s[0:1], 0x38
	v_lshl_add_u32 v0, v0, 1, v0
	v_sub_u32_e32 v0, v4, v0
	v_mul_u32_u24_e32 v144, 0x4a6, v0
	v_lshlrev_b32_e32 v0, 4, v2
	s_movk_i32 s2, 0x46
	v_accvgpr_write_b32 a2, v2
	v_accvgpr_write_b32 a0, v0
	v_lshlrev_b32_e32 v0, 4, v144
	v_accvgpr_write_b32 a4, v4
	v_cmp_gt_u16_e64 s[4:5], s2, v2
	v_accvgpr_write_b32 a3, v3
	v_accvgpr_write_b32 a1, v0
	s_and_saveexec_b64 s[2:3], s[4:5]
	s_cbranch_execz .LBB0_3
; %bb.2:
	s_load_dwordx2 s[8:9], s[0:1], 0x18
	v_accvgpr_read_b32 v10, a4
	v_accvgpr_read_b32 v139, a3
	v_mov_b32_e32 v0, s6
	v_mov_b32_e32 v1, s7
	s_waitcnt lgkmcnt(0)
	s_load_dwordx4 s[8:11], s[8:9], 0x0
	v_accvgpr_read_b32 v138, a2
	v_accvgpr_read_b32 v142, a0
	v_mov_b32_e32 v143, 0
	v_lshl_add_u64 v[100:101], s[12:13], 0, v[142:143]
	s_waitcnt lgkmcnt(0)
	v_mad_u64_u32 v[2:3], s[6:7], s10, v10, 0
	v_mad_u64_u32 v[4:5], s[6:7], s8, v138, 0
	v_mov_b32_e32 v6, v3
	v_mov_b32_e32 v8, v5
	v_mad_u64_u32 v[6:7], s[6:7], s11, v10, v[6:7]
	v_mov_b32_e32 v3, v6
	v_mad_u64_u32 v[6:7], s[6:7], s9, v138, v[8:9]
	s_movk_i32 s6, 0x1000
	v_mov_b32_e32 v5, v6
	v_lshl_add_u64 v[0:1], v[2:3], 4, v[0:1]
	v_add_co_u32_e32 v40, vcc, s6, v100
	v_lshl_add_u64 v[20:21], v[4:5], 4, v[0:1]
	v_mov_b32_e32 v22, 0x460
	s_movk_i32 s7, 0x2000
	v_addc_co_u32_e32 v41, vcc, 0, v101, vcc
	global_load_dwordx4 v[0:3], v142, s[12:13]
	global_load_dwordx4 v[4:7], v[20:21], off
	v_add_co_u32_e32 v60, vcc, s7, v100
	s_mulk_i32 s9, 0x460
	v_mad_u64_u32 v[20:21], s[6:7], s8, v22, v[20:21]
	v_add_u32_e32 v21, s9, v21
	global_load_dwordx4 v[8:11], v142, s[12:13] offset:1120
	global_load_dwordx4 v[12:15], v142, s[12:13] offset:2240
	;; [unrolled: 1-line block ×3, first 2 shown]
	v_addc_co_u32_e32 v61, vcc, 0, v101, vcc
	global_load_dwordx4 v[24:27], v[40:41], off offset:384
	global_load_dwordx4 v[28:31], v[40:41], off offset:1504
	;; [unrolled: 1-line block ×4, first 2 shown]
	s_nop 0
	global_load_dwordx4 v[40:43], v[20:21], off
	global_load_dwordx4 v[44:47], v[60:61], off offset:768
	global_load_dwordx4 v[48:51], v[60:61], off offset:1888
	v_mad_u64_u32 v[20:21], s[6:7], s8, v22, v[20:21]
	v_add_u32_e32 v21, s9, v21
	s_movk_i32 s11, 0x4000
	global_load_dwordx4 v[52:55], v[20:21], off
	global_load_dwordx4 v[56:59], v[60:61], off offset:3008
	v_mad_u64_u32 v[20:21], s[6:7], s8, v22, v[20:21]
	v_add_co_u32_e32 v132, vcc, s11, v100
	v_add_u32_e32 v21, s9, v21
	s_nop 0
	v_addc_co_u32_e32 v133, vcc, 0, v101, vcc
	global_load_dwordx4 v[60:63], v[20:21], off
	global_load_dwordx4 v[64:67], v[132:133], off offset:1536
	v_mad_u64_u32 v[20:21], s[6:7], s8, v22, v[20:21]
	v_add_u32_e32 v21, s9, v21
	global_load_dwordx4 v[68:71], v[20:21], off
	v_mad_u64_u32 v[20:21], s[6:7], s8, v22, v[20:21]
	v_add_u32_e32 v21, s9, v21
	global_load_dwordx4 v[72:75], v[20:21], off
	;; [unrolled: 3-line block ×6, first 2 shown]
	v_mad_u64_u32 v[20:21], s[6:7], s8, v22, v[20:21]
	s_movk_i32 s10, 0x3000
	v_add_u32_e32 v21, s9, v21
	global_load_dwordx4 v[92:95], v[20:21], off
	v_mad_u64_u32 v[104:105], s[6:7], s8, v22, v[20:21]
	v_add_co_u32_e32 v124, vcc, s10, v100
	v_add_u32_e32 v105, s9, v105
	s_nop 0
	v_addc_co_u32_e32 v125, vcc, 0, v101, vcc
	global_load_dwordx4 v[96:99], v[104:105], off
	global_load_dwordx4 v[100:103], v[124:125], off offset:32
	v_mad_u64_u32 v[112:113], s[6:7], s8, v22, v[104:105]
	v_add_u32_e32 v113, s9, v113
	global_load_dwordx4 v[104:107], v[112:113], off
	global_load_dwordx4 v[108:111], v[124:125], off offset:1152
	v_mad_u64_u32 v[120:121], s[6:7], s8, v22, v[112:113]
	v_add_u32_e32 v121, s9, v121
	;; [unrolled: 4-line block ×3, first 2 shown]
	global_load_dwordx4 v[120:123], v[128:129], off
	s_nop 0
	global_load_dwordx4 v[124:127], v[124:125], off offset:3392
	v_mad_u64_u32 v[136:137], s[6:7], s8, v22, v[128:129]
	v_add_u32_e32 v137, s9, v137
	global_load_dwordx4 v[128:131], v[136:137], off
	s_nop 0
	global_load_dwordx4 v[132:135], v[132:133], off offset:416
	v_mad_u64_u32 v[22:23], s[6:7], s8, v22, v[136:137]
	v_accvgpr_read_b32 v141, a1
	v_add_u32_e32 v23, s9, v23
	v_lshl_add_u32 v140, v138, 4, v141
	global_load_dwordx4 v[136:139], v[22:23], off
	s_waitcnt vmcnt(32)
	v_mul_f64 v[20:21], v[6:7], v[2:3]
	v_mul_f64 v[2:3], v[4:5], v[2:3]
	v_fmac_f64_e32 v[20:21], v[4:5], v[0:1]
	v_fma_f64 v[22:23], v[6:7], v[0:1], -v[2:3]
	s_waitcnt vmcnt(24)
	v_mul_f64 v[0:1], v[42:43], v[10:11]
	v_mul_f64 v[2:3], v[40:41], v[10:11]
	v_fmac_f64_e32 v[0:1], v[40:41], v[8:9]
	v_add_u32_e32 v4, v141, v142
	v_fma_f64 v[2:3], v[42:43], v[8:9], -v[2:3]
	ds_write_b128 v140, v[20:23]
	ds_write_b128 v4, v[0:3] offset:1120
	s_waitcnt vmcnt(21)
	v_mul_f64 v[0:1], v[54:55], v[14:15]
	v_mul_f64 v[2:3], v[52:53], v[14:15]
	v_fmac_f64_e32 v[0:1], v[52:53], v[12:13]
	v_fma_f64 v[2:3], v[54:55], v[12:13], -v[2:3]
	ds_write_b128 v4, v[0:3] offset:2240
	s_waitcnt vmcnt(19)
	v_mul_f64 v[0:1], v[62:63], v[18:19]
	v_mul_f64 v[2:3], v[60:61], v[18:19]
	v_fmac_f64_e32 v[0:1], v[60:61], v[16:17]
	v_fma_f64 v[2:3], v[62:63], v[16:17], -v[2:3]
	;; [unrolled: 6-line block ×15, first 2 shown]
	ds_write_b128 v4, v[0:3] offset:17920
.LBB0_3:
	s_or_b64 exec, exec, s[2:3]
	s_load_dwordx2 s[2:3], s[0:1], 0x20
	s_load_dwordx2 s[6:7], s[0:1], 0x8
	s_waitcnt lgkmcnt(0)
	s_barrier
	s_waitcnt lgkmcnt(0)
                                        ; implicit-def: $vgpr8_vgpr9
                                        ; implicit-def: $vgpr12_vgpr13
                                        ; implicit-def: $vgpr16_vgpr17
                                        ; implicit-def: $vgpr20_vgpr21
                                        ; implicit-def: $vgpr24_vgpr25
                                        ; implicit-def: $vgpr28_vgpr29
                                        ; implicit-def: $vgpr32_vgpr33
                                        ; implicit-def: $vgpr36_vgpr37
                                        ; implicit-def: $vgpr40_vgpr41
                                        ; implicit-def: $vgpr44_vgpr45
                                        ; implicit-def: $vgpr48_vgpr49
                                        ; implicit-def: $vgpr52_vgpr53
                                        ; implicit-def: $vgpr56_vgpr57
                                        ; implicit-def: $vgpr60_vgpr61
                                        ; implicit-def: $vgpr64_vgpr65
                                        ; implicit-def: $vgpr68_vgpr69
                                        ; implicit-def: $vgpr72_vgpr73
	s_and_saveexec_b64 s[0:1], s[4:5]
	s_cbranch_execz .LBB0_5
; %bb.4:
	v_accvgpr_read_b32 v0, a0
	v_lshl_add_u32 v0, v144, 4, v0
	ds_read_b128 v[8:11], v0
	ds_read_b128 v[12:15], v0 offset:1120
	ds_read_b128 v[16:19], v0 offset:2240
	;; [unrolled: 1-line block ×16, first 2 shown]
.LBB0_5:
	s_or_b64 exec, exec, s[0:1]
	s_mov_b32 s36, 0x5d8e7cdc
	s_waitcnt lgkmcnt(0)
	v_add_f64 v[112:113], v[14:15], -v[74:75]
	s_mov_b32 s0, 0x370991
	s_mov_b32 s37, 0xbfd71e95
	;; [unrolled: 1-line block ×3, first 2 shown]
	v_add_f64 v[152:153], v[12:13], v[72:73]
	v_add_f64 v[116:117], v[12:13], -v[72:73]
	s_mov_b32 s1, 0x3fedd6d0
	v_mul_f64 v[92:93], v[112:113], s[36:37]
	s_mov_b32 s18, 0x75d4884
	s_mov_b32 s29, 0xbfe58eea
	v_add_f64 v[114:115], v[18:19], -v[70:71]
	v_add_f64 v[154:155], v[14:15], v[74:75]
	v_mul_f64 v[94:95], v[116:117], s[36:37]
	v_fma_f64 v[0:1], s[0:1], v[152:153], v[92:93]
	s_mov_b32 s19, 0x3fe7a5f6
	v_add_f64 v[162:163], v[16:17], v[68:69]
	v_add_f64 v[118:119], v[16:17], -v[68:69]
	v_mul_f64 v[96:97], v[114:115], s[28:29]
	s_mov_b32 s34, 0xeb564b22
	v_add_f64 v[0:1], v[8:9], v[0:1]
	v_fma_f64 v[2:3], v[154:155], s[0:1], -v[94:95]
	v_mul_f64 v[98:99], v[112:113], s[28:29]
	s_mov_b32 s30, 0x7c9e640b
	v_add_f64 v[164:165], v[18:19], v[70:71]
	v_mul_f64 v[100:101], v[118:119], s[28:29]
	v_fma_f64 v[80:81], s[18:19], v[162:163], v[96:97]
	s_mov_b32 s22, 0x3259b75e
	s_mov_b32 s35, 0xbfefdd0d
	v_add_f64 v[2:3], v[10:11], v[2:3]
	v_mul_f64 v[102:103], v[116:117], s[28:29]
	v_fma_f64 v[4:5], s[18:19], v[152:153], v[98:99]
	s_mov_b32 s8, 0x2b2883cd
	s_mov_b32 s31, 0xbfeca52d
	v_add_f64 v[0:1], v[80:81], v[0:1]
	v_fma_f64 v[80:81], v[164:165], s[18:19], -v[100:101]
	s_mov_b32 s23, 0x3fb79ee6
	v_mul_f64 v[106:107], v[114:115], s[34:35]
	s_mov_b32 s40, 0x6c9a05f6
	v_add_f64 v[4:5], v[8:9], v[4:5]
	v_fma_f64 v[6:7], v[154:155], s[18:19], -v[102:103]
	s_mov_b32 s9, 0x3fdc86fa
	v_mul_f64 v[158:159], v[112:113], s[30:31]
	v_add_f64 v[2:3], v[80:81], v[2:3]
	v_mul_f64 v[110:111], v[118:119], s[34:35]
	v_fma_f64 v[80:81], s[22:23], v[162:163], v[106:107]
	s_mov_b32 s16, 0x6ed5f1bb
	s_mov_b32 s41, 0xbfe9895b
	v_add_f64 v[6:7], v[10:11], v[6:7]
	v_mul_f64 v[180:181], v[116:117], s[30:31]
	v_fma_f64 v[76:77], s[8:9], v[152:153], v[158:159]
	v_add_f64 v[4:5], v[80:81], v[4:5]
	v_fma_f64 v[80:81], v[164:165], s[22:23], -v[110:111]
	s_mov_b32 s17, 0xbfe348c8
	v_mul_f64 v[178:179], v[114:115], s[40:41]
	v_add_f64 v[76:77], v[8:9], v[76:77]
	v_fma_f64 v[78:79], v[154:155], s[8:9], -v[180:181]
	v_add_f64 v[6:7], v[80:81], v[6:7]
	v_mul_f64 v[206:207], v[118:119], s[40:41]
	v_fma_f64 v[80:81], s[16:17], v[162:163], v[178:179]
	v_add_f64 v[240:241], v[22:23], -v[66:67]
	v_add_f64 v[78:79], v[10:11], v[78:79]
	v_add_f64 v[76:77], v[80:81], v[76:77]
	v_fma_f64 v[80:81], v[164:165], s[16:17], -v[206:207]
	v_add_f64 v[174:175], v[20:21], v[64:65]
	v_add_f64 v[228:229], v[20:21], -v[64:65]
	v_mul_f64 v[104:105], v[240:241], s[30:31]
	v_add_f64 v[78:79], v[80:81], v[78:79]
	v_add_f64 v[176:177], v[22:23], v[66:67]
	v_mul_f64 v[108:109], v[228:229], s[30:31]
	v_fma_f64 v[80:81], s[8:9], v[174:175], v[104:105]
	v_add_f64 v[0:1], v[80:81], v[0:1]
	v_fma_f64 v[80:81], v[176:177], s[8:9], -v[108:109]
	v_mul_f64 v[130:131], v[240:241], s[40:41]
	s_mov_b32 s44, 0xacd6c6b4
	v_add_f64 v[2:3], v[80:81], v[2:3]
	v_mul_f64 v[134:135], v[228:229], s[40:41]
	v_fma_f64 v[80:81], s[16:17], v[174:175], v[130:131]
	s_mov_b32 s20, 0x7faef3
	s_mov_b32 s45, 0x3fc7851a
	v_add_f64 v[4:5], v[80:81], v[4:5]
	v_fma_f64 v[80:81], v[176:177], s[16:17], -v[134:135]
	s_mov_b32 s21, 0xbfef7484
	v_mul_f64 v[198:199], v[240:241], s[44:45]
	v_add_f64 v[6:7], v[80:81], v[6:7]
	v_mul_f64 v[222:223], v[228:229], s[44:45]
	v_fma_f64 v[80:81], s[20:21], v[174:175], v[198:199]
	v_add_f64 v[246:247], v[26:27], -v[62:63]
	v_add_f64 v[76:77], v[80:81], v[76:77]
	v_fma_f64 v[80:81], v[176:177], s[20:21], -v[222:223]
	v_add_f64 v[186:187], v[24:25], v[60:61]
	v_add_f64 v[238:239], v[24:25], -v[60:61]
	v_mul_f64 v[128:129], v[246:247], s[34:35]
	v_add_f64 v[78:79], v[80:81], v[78:79]
	v_add_f64 v[188:189], v[26:27], v[62:63]
	v_mul_f64 v[132:133], v[238:239], s[34:35]
	v_fma_f64 v[80:81], s[22:23], v[186:187], v[128:129]
	s_mov_b32 s39, 0xbfc7851a
	s_mov_b32 s38, s44
	v_add_f64 v[80:81], v[80:81], v[0:1]
	v_fma_f64 v[0:1], v[188:189], s[22:23], -v[132:133]
	v_mul_f64 v[138:139], v[246:247], s[38:39]
	s_mov_b32 s42, 0x923c349f
	v_add_f64 v[2:3], v[0:1], v[2:3]
	v_mul_f64 v[160:161], v[238:239], s[38:39]
	v_fma_f64 v[0:1], s[20:21], v[186:187], v[138:139]
	s_mov_b32 s24, 0xc61f0d01
	s_mov_b32 s43, 0x3feec746
	v_add_f64 v[4:5], v[0:1], v[4:5]
	v_fma_f64 v[0:1], v[188:189], s[20:21], -v[160:161]
	s_mov_b32 s25, 0xbfd183b1
	v_mul_f64 v[218:219], v[246:247], s[42:43]
	v_add_f64 v[6:7], v[0:1], v[6:7]
	v_mul_f64 v[234:235], v[238:239], s[42:43]
	v_fma_f64 v[0:1], s[24:25], v[186:187], v[218:219]
	v_add_f64 v[76:77], v[0:1], v[76:77]
	v_fma_f64 v[0:1], v[188:189], s[24:25], -v[234:235]
	v_add_f64 v[78:79], v[0:1], v[78:79]
	v_add_f64 v[0:1], v[30:31], -v[58:59]
	s_mov_b32 s51, 0xbfeec746
	s_mov_b32 s50, s42
	v_add_f64 v[194:195], v[28:29], v[56:57]
	v_add_f64 v[248:249], v[28:29], -v[56:57]
	v_mul_f64 v[136:137], v[0:1], s[50:51]
	s_mov_b32 s52, 0x4363dd80
	v_add_f64 v[196:197], v[30:31], v[58:59]
	v_mul_f64 v[142:143], v[248:249], s[50:51]
	v_fma_f64 v[82:83], s[24:25], v[194:195], v[136:137]
	s_mov_b32 s26, 0x910ea3b9
	s_mov_b32 s53, 0x3fe0d888
	v_add_f64 v[80:81], v[82:83], v[80:81]
	v_fma_f64 v[82:83], v[196:197], s[24:25], -v[142:143]
	s_mov_b32 s27, 0xbfeb34fa
	v_mul_f64 v[168:169], v[0:1], s[52:53]
	v_add_f64 v[2:3], v[82:83], v[2:3]
	v_mul_f64 v[182:183], v[248:249], s[52:53]
	v_fma_f64 v[82:83], s[26:27], v[194:195], v[168:169]
	s_mov_b32 s47, 0x3fe58eea
	s_mov_b32 s46, s28
	v_add_f64 v[82:83], v[82:83], v[4:5]
	v_fma_f64 v[4:5], v[196:197], s[26:27], -v[182:183]
	v_mul_f64 v[232:233], v[0:1], s[46:47]
	v_add_f64 v[84:85], v[4:5], v[6:7]
	v_mul_f64 v[242:243], v[248:249], s[46:47]
	v_fma_f64 v[4:5], s[18:19], v[194:195], v[232:233]
	v_add_f64 v[76:77], v[4:5], v[76:77]
	v_fma_f64 v[4:5], v[196:197], s[18:19], -v[242:243]
	v_add_f64 v[6:7], v[34:35], -v[54:55]
	v_add_f64 v[78:79], v[4:5], v[78:79]
	v_add_f64 v[208:209], v[32:33], v[52:53]
	v_add_f64 v[4:5], v[32:33], -v[52:53]
	v_mul_f64 v[166:167], v[6:7], s[40:41]
	v_add_f64 v[210:211], v[34:35], v[54:55]
	v_mul_f64 v[170:171], v[4:5], s[40:41]
	v_fma_f64 v[86:87], s[16:17], v[208:209], v[166:167]
	v_add_f64 v[80:81], v[86:87], v[80:81]
	v_fma_f64 v[86:87], v[210:211], s[16:17], -v[170:171]
	v_mul_f64 v[184:185], v[6:7], s[42:43]
	v_add_f64 v[2:3], v[86:87], v[2:3]
	v_mul_f64 v[200:201], v[4:5], s[42:43]
	v_fma_f64 v[86:87], s[24:25], v[208:209], v[184:185]
	v_add_f64 v[82:83], v[86:87], v[82:83]
	v_fma_f64 v[86:87], v[210:211], s[24:25], -v[200:201]
	v_mul_f64 v[236:237], v[6:7], s[36:37]
	v_add_f64 v[84:85], v[86:87], v[84:85]
	v_mul_f64 v[250:251], v[4:5], s[36:37]
	v_fma_f64 v[86:87], s[0:1], v[208:209], v[236:237]
	v_add_f64 v[122:123], v[38:39], -v[50:51]
	s_mov_b32 s49, 0xbfe0d888
	s_mov_b32 s48, s52
	v_add_f64 v[76:77], v[86:87], v[76:77]
	v_fma_f64 v[86:87], v[210:211], s[0:1], -v[250:251]
	v_add_f64 v[214:215], v[36:37], v[48:49]
	v_add_f64 v[120:121], v[36:37], -v[48:49]
	v_mul_f64 v[172:173], v[122:123], s[48:49]
	v_add_f64 v[78:79], v[86:87], v[78:79]
	v_add_f64 v[212:213], v[38:39], v[50:51]
	v_mul_f64 v[190:191], v[120:121], s[48:49]
	v_fma_f64 v[86:87], s[26:27], v[214:215], v[172:173]
	s_mov_b32 s57, 0x3feca52d
	s_mov_b32 s56, s30
	v_add_f64 v[80:81], v[86:87], v[80:81]
	v_fma_f64 v[86:87], v[212:213], s[26:27], -v[190:191]
	v_mul_f64 v[202:203], v[122:123], s[56:57]
	v_add_f64 v[86:87], v[86:87], v[2:3]
	v_mul_f64 v[220:221], v[120:121], s[56:57]
	v_fma_f64 v[2:3], s[8:9], v[214:215], v[202:203]
	v_add_f64 v[82:83], v[2:3], v[82:83]
	v_fma_f64 v[2:3], v[212:213], s[8:9], -v[220:221]
	v_mul_f64 v[244:245], v[122:123], s[34:35]
	v_add_f64 v[84:85], v[2:3], v[84:85]
	v_mul_f64 v[2:3], v[120:121], s[34:35]
	v_fma_f64 v[88:89], s[22:23], v[214:215], v[244:245]
	v_add_f64 v[126:127], v[42:43], -v[46:47]
	v_add_f64 v[76:77], v[88:89], v[76:77]
	v_fma_f64 v[88:89], v[212:213], s[22:23], -v[2:3]
	v_add_f64 v[224:225], v[40:41], v[44:45]
	v_add_f64 v[124:125], v[40:41], -v[44:45]
	v_mul_f64 v[192:193], v[126:127], s[38:39]
	v_add_f64 v[78:79], v[88:89], v[78:79]
	v_add_f64 v[226:227], v[42:43], v[46:47]
	v_mul_f64 v[204:205], v[124:125], s[38:39]
	v_fma_f64 v[88:89], s[20:21], v[224:225], v[192:193]
	s_mov_b32 s55, 0x3fd71e95
	s_mov_b32 s54, s36
	v_add_f64 v[88:89], v[88:89], v[80:81]
	v_fma_f64 v[80:81], v[226:227], s[20:21], -v[204:205]
	v_mul_f64 v[216:217], v[126:127], s[54:55]
	v_add_f64 v[90:91], v[80:81], v[86:87]
	v_mul_f64 v[230:231], v[124:125], s[54:55]
	v_fma_f64 v[80:81], s[0:1], v[224:225], v[216:217]
	v_add_f64 v[82:83], v[80:81], v[82:83]
	v_fma_f64 v[80:81], v[226:227], s[0:1], -v[230:231]
	v_mul_f64 v[252:253], v[126:127], s[48:49]
	v_add_f64 v[84:85], v[80:81], v[84:85]
	v_accvgpr_write_b32 a6, v82
	v_mul_f64 v[254:255], v[124:125], s[48:49]
	v_fma_f64 v[80:81], s[26:27], v[224:225], v[252:253]
	v_accvgpr_write_b32 a10, v88
	v_accvgpr_write_b32 a7, v83
	;; [unrolled: 1-line block ×4, first 2 shown]
	v_add_f64 v[84:85], v[80:81], v[76:77]
	v_fma_f64 v[76:77], v[226:227], s[26:27], -v[254:255]
	v_accvgpr_write_b32 a11, v89
	v_accvgpr_write_b32 a12, v90
	;; [unrolled: 1-line block ×3, first 2 shown]
	v_add_f64 v[86:87], v[76:77], v[78:79]
	s_barrier
	s_and_saveexec_b64 s[10:11], s[4:5]
	s_cbranch_execz .LBB0_7
; %bb.6:
	v_mul_f64 v[82:83], v[154:155], s[20:21]
	v_mul_f64 v[80:81], v[164:165], s[0:1]
	v_fma_f64 v[78:79], s[44:45], v[116:117], v[82:83]
	v_fma_f64 v[76:77], s[36:37], v[118:119], v[80:81]
	v_add_f64 v[78:79], v[10:11], v[78:79]
	v_mul_f64 v[88:89], v[176:177], s[26:27]
	v_add_f64 v[76:77], v[76:77], v[78:79]
	v_fma_f64 v[78:79], s[52:53], v[228:229], v[88:89]
	v_mul_f64 v[90:91], v[188:189], s[18:19]
	v_accvgpr_write_b32 a18, v92
	v_add_f64 v[76:77], v[78:79], v[76:77]
	v_fma_f64 v[78:79], s[28:29], v[238:239], v[90:91]
	s_mov_b32 s59, 0x3fe9895b
	s_mov_b32 s58, s40
	v_accvgpr_write_b32 a19, v93
	v_mul_f64 v[92:93], v[196:197], s[16:17]
	v_accvgpr_write_b32 a26, v94
	v_add_f64 v[76:77], v[78:79], v[76:77]
	v_fma_f64 v[78:79], s[58:59], v[248:249], v[92:93]
	v_accvgpr_write_b32 a27, v95
	v_mul_f64 v[94:95], v[210:211], s[8:9]
	v_accvgpr_write_b32 a20, v96
	v_add_f64 v[76:77], v[78:79], v[76:77]
	v_fma_f64 v[78:79], s[30:31], v[4:5], v[94:95]
	;; [unrolled: 5-line block ×4, first 2 shown]
	v_accvgpr_write_b32 a31, v101
	v_mul_f64 v[100:101], v[114:115], s[54:55]
	v_accvgpr_write_b32 a42, v102
	v_add_f64 v[78:79], v[8:9], v[78:79]
	v_accvgpr_write_b32 a43, v103
	v_fma_f64 v[102:103], s[0:1], v[162:163], v[100:101]
	v_add_f64 v[78:79], v[102:103], v[78:79]
	v_mul_f64 v[102:103], v[240:241], s[48:49]
	v_accvgpr_write_b32 a28, v104
	v_accvgpr_write_b32 a29, v105
	v_fma_f64 v[104:105], s[26:27], v[174:175], v[102:103]
	v_add_f64 v[78:79], v[104:105], v[78:79]
	v_mul_f64 v[104:105], v[246:247], s[46:47]
	v_accvgpr_write_b32 a38, v106
	;; [unrolled: 5-line block ×3, first 2 shown]
	v_fmac_f64_e32 v[82:83], s[38:39], v[116:117]
	v_accvgpr_write_b32 a33, v109
	v_fma_f64 v[108:109], s[16:17], v[194:195], v[106:107]
	v_fmac_f64_e32 v[80:81], s[54:55], v[118:119]
	v_add_f64 v[82:83], v[10:11], v[82:83]
	v_add_f64 v[78:79], v[108:109], v[78:79]
	v_mul_f64 v[108:109], v[6:7], s[56:57]
	v_accvgpr_write_b32 a44, v110
	v_add_f64 v[80:81], v[80:81], v[82:83]
	v_fmac_f64_e32 v[88:89], s[48:49], v[228:229]
	v_accvgpr_write_b32 a45, v111
	v_fma_f64 v[110:111], s[8:9], v[208:209], v[108:109]
	v_add_f64 v[80:81], v[88:89], v[80:81]
	v_fma_f64 v[88:89], v[152:153], s[20:21], -v[98:99]
	v_add_f64 v[78:79], v[110:111], v[78:79]
	v_mul_f64 v[110:111], v[122:123], s[50:51]
	v_accvgpr_write_b32 a40, v130
	v_accvgpr_write_b32 a36, v132
	v_fma_f64 v[82:83], v[162:163], s[0:1], -v[100:101]
	v_add_f64 v[88:89], v[8:9], v[88:89]
	v_accvgpr_write_b32 a41, v131
	v_fma_f64 v[130:131], s[24:25], v[214:215], v[110:111]
	v_accvgpr_write_b32 a37, v133
	v_mul_f64 v[132:133], v[226:227], s[22:23]
	s_mov_b32 s61, 0x3fefdd0d
	s_mov_b32 s60, s34
	v_accvgpr_write_b32 a46, v134
	v_fmac_f64_e32 v[90:91], s[46:47], v[238:239]
	v_add_f64 v[82:83], v[82:83], v[88:89]
	v_fma_f64 v[88:89], v[174:175], s[26:27], -v[102:103]
	v_add_f64 v[130:131], v[130:131], v[78:79]
	v_fma_f64 v[78:79], s[34:35], v[124:125], v[132:133]
	v_accvgpr_write_b32 a47, v135
	v_mul_f64 v[134:135], v[126:127], s[60:61]
	v_add_f64 v[80:81], v[90:91], v[80:81]
	v_fmac_f64_e32 v[92:93], s[40:41], v[248:249]
	v_add_f64 v[82:83], v[88:89], v[82:83]
	v_fma_f64 v[88:89], v[186:187], s[18:19], -v[104:105]
	v_add_f64 v[78:79], v[78:79], v[76:77]
	v_fma_f64 v[76:77], s[22:23], v[224:225], v[134:135]
	v_add_f64 v[80:81], v[92:93], v[80:81]
	v_fmac_f64_e32 v[94:95], s[56:57], v[4:5]
	v_add_f64 v[82:83], v[88:89], v[82:83]
	v_fma_f64 v[88:89], v[194:195], s[16:17], -v[106:107]
	v_add_f64 v[76:77], v[76:77], v[130:131]
	v_add_f64 v[80:81], v[94:95], v[80:81]
	v_fmac_f64_e32 v[96:97], s[50:51], v[120:121]
	v_add_f64 v[82:83], v[88:89], v[82:83]
	v_fma_f64 v[88:89], v[208:209], s[8:9], -v[108:109]
	v_accvgpr_write_b32 a14, v76
	v_add_f64 v[80:81], v[96:97], v[80:81]
	v_add_f64 v[82:83], v[88:89], v[82:83]
	v_fma_f64 v[88:89], v[214:215], s[24:25], -v[110:111]
	v_fmac_f64_e32 v[132:133], s[60:61], v[124:125]
	v_accvgpr_write_b32 a15, v77
	v_accvgpr_write_b32 a16, v78
	;; [unrolled: 1-line block ×3, first 2 shown]
	v_add_f64 v[88:89], v[88:89], v[82:83]
	v_add_f64 v[78:79], v[132:133], v[80:81]
	v_fma_f64 v[80:81], v[224:225], s[22:23], -v[134:135]
	v_mul_f64 v[92:93], v[154:155], s[26:27]
	v_add_f64 v[76:77], v[80:81], v[88:89]
	v_fma_f64 v[88:89], s[52:53], v[116:117], v[92:93]
	v_mul_f64 v[94:95], v[164:165], s[8:9]
	v_add_f64 v[88:89], v[10:11], v[88:89]
	v_fma_f64 v[90:91], s[30:31], v[118:119], v[94:95]
	;; [unrolled: 3-line block ×9, first 2 shown]
	v_add_f64 v[90:91], v[110:111], v[90:91]
	v_mul_f64 v[110:111], v[240:241], s[34:35]
	v_fma_f64 v[130:131], s[22:23], v[174:175], v[110:111]
	v_add_f64 v[90:91], v[130:131], v[90:91]
	v_mul_f64 v[130:131], v[246:247], s[58:59]
	v_fma_f64 v[132:133], s[16:17], v[186:187], v[130:131]
	;; [unrolled: 3-line block ×3, first 2 shown]
	v_accvgpr_write_b32 a22, v76
	v_add_f64 v[90:91], v[134:135], v[90:91]
	v_mul_f64 v[134:135], v[6:7], s[38:39]
	v_accvgpr_write_b32 a23, v77
	v_accvgpr_write_b32 a24, v78
	v_accvgpr_write_b32 a25, v79
	v_fma_f64 v[76:77], s[20:21], v[208:209], v[134:135]
	v_mul_f64 v[78:79], v[122:123], s[46:47]
	v_accvgpr_write_b32 a48, v136
	v_add_f64 v[76:77], v[76:77], v[90:91]
	v_fma_f64 v[90:91], s[18:19], v[214:215], v[78:79]
	v_accvgpr_write_b32 a49, v137
	v_mul_f64 v[136:137], v[226:227], s[24:25]
	v_accvgpr_write_b32 a50, v138
	v_add_f64 v[76:77], v[90:91], v[76:77]
	v_fma_f64 v[90:91], s[42:43], v[124:125], v[136:137]
	v_accvgpr_write_b32 a51, v139
	v_mul_f64 v[138:139], v[126:127], s[50:51]
	v_add_f64 v[90:91], v[90:91], v[88:89]
	v_fma_f64 v[88:89], s[24:25], v[224:225], v[138:139]
	v_fmac_f64_e32 v[92:93], s[48:49], v[116:117]
	v_add_f64 v[88:89], v[88:89], v[76:77]
	v_fmac_f64_e32 v[94:95], s[56:57], v[118:119]
	v_add_f64 v[76:77], v[10:11], v[92:93]
	v_add_f64 v[76:77], v[94:95], v[76:77]
	v_fma_f64 v[94:95], v[152:153], s[26:27], -v[106:107]
	v_fmac_f64_e32 v[96:97], s[34:35], v[228:229]
	v_fma_f64 v[92:93], v[162:163], s[8:9], -v[108:109]
	v_add_f64 v[94:95], v[8:9], v[94:95]
	v_add_f64 v[76:77], v[96:97], v[76:77]
	v_fmac_f64_e32 v[98:99], s[58:59], v[238:239]
	v_add_f64 v[92:93], v[92:93], v[94:95]
	v_fma_f64 v[94:95], v[174:175], s[22:23], -v[110:111]
	v_add_f64 v[76:77], v[98:99], v[76:77]
	v_fmac_f64_e32 v[100:101], s[36:37], v[248:249]
	v_add_f64 v[92:93], v[94:95], v[92:93]
	v_fma_f64 v[94:95], v[186:187], s[16:17], -v[130:131]
	;; [unrolled: 4-line block ×4, first 2 shown]
	v_add_f64 v[76:77], v[104:105], v[76:77]
	v_add_f64 v[92:93], v[94:95], v[92:93]
	v_fma_f64 v[78:79], v[214:215], s[18:19], -v[78:79]
	v_fmac_f64_e32 v[136:137], s[50:51], v[124:125]
	v_add_f64 v[78:79], v[78:79], v[92:93]
	v_add_f64 v[94:95], v[136:137], v[76:77]
	v_fma_f64 v[76:77], v[224:225], s[24:25], -v[138:139]
	v_add_f64 v[92:93], v[76:77], v[78:79]
	v_mul_f64 v[76:77], v[154:155], s[16:17]
	v_fma_f64 v[78:79], s[58:59], v[116:117], v[76:77]
	v_mul_f64 v[100:101], v[164:165], s[24:25]
	v_add_f64 v[78:79], v[10:11], v[78:79]
	v_fma_f64 v[96:97], s[50:51], v[118:119], v[100:101]
	v_mul_f64 v[102:103], v[176:177], s[0:1]
	v_add_f64 v[78:79], v[96:97], v[78:79]
	;; [unrolled: 3-line block ×6, first 2 shown]
	v_fma_f64 v[96:97], s[44:45], v[120:121], v[110:111]
	v_mul_f64 v[130:131], v[112:113], s[40:41]
	v_fmac_f64_e32 v[76:77], s[40:41], v[116:117]
	v_add_f64 v[78:79], v[96:97], v[78:79]
	v_fma_f64 v[96:97], s[16:17], v[152:153], v[130:131]
	v_mul_f64 v[132:133], v[114:115], s[42:43]
	v_fmac_f64_e32 v[100:101], s[42:43], v[118:119]
	v_add_f64 v[76:77], v[10:11], v[76:77]
	v_add_f64 v[96:97], v[8:9], v[96:97]
	v_fma_f64 v[98:99], s[24:25], v[162:163], v[132:133]
	v_mul_f64 v[134:135], v[240:241], s[36:37]
	v_add_f64 v[76:77], v[100:101], v[76:77]
	v_fmac_f64_e32 v[102:103], s[36:37], v[228:229]
	v_add_f64 v[96:97], v[98:99], v[96:97]
	v_fma_f64 v[98:99], s[0:1], v[174:175], v[134:135]
	v_mul_f64 v[136:137], v[246:247], s[48:49]
	v_add_f64 v[76:77], v[102:103], v[76:77]
	v_fma_f64 v[102:103], v[152:153], s[16:17], -v[130:131]
	v_add_f64 v[96:97], v[98:99], v[96:97]
	v_fma_f64 v[98:99], s[26:27], v[186:187], v[136:137]
	v_mul_f64 v[138:139], v[0:1], s[60:61]
	v_fma_f64 v[100:101], v[162:163], s[24:25], -v[132:133]
	v_add_f64 v[102:103], v[8:9], v[102:103]
	v_add_f64 v[96:97], v[98:99], v[96:97]
	v_fma_f64 v[98:99], s[22:23], v[194:195], v[138:139]
	v_mul_f64 v[140:141], v[6:7], s[28:29]
	v_accvgpr_write_b32 a54, v142
	v_fmac_f64_e32 v[104:105], s[48:49], v[238:239]
	v_add_f64 v[100:101], v[100:101], v[102:103]
	v_fma_f64 v[102:103], v[174:175], s[0:1], -v[134:135]
	v_add_f64 v[96:97], v[98:99], v[96:97]
	v_fma_f64 v[98:99], s[18:19], v[208:209], v[140:141]
	v_accvgpr_write_b32 a55, v143
	v_mul_f64 v[142:143], v[122:123], s[38:39]
	v_accvgpr_write_b32 a52, v128
	v_add_f64 v[76:77], v[104:105], v[76:77]
	v_fmac_f64_e32 v[106:107], s[60:61], v[248:249]
	v_add_f64 v[100:101], v[102:103], v[100:101]
	v_fma_f64 v[102:103], v[186:187], s[26:27], -v[136:137]
	v_add_f64 v[96:97], v[98:99], v[96:97]
	v_fma_f64 v[98:99], s[20:21], v[214:215], v[142:143]
	v_accvgpr_write_b32 a53, v129
	v_mul_f64 v[128:129], v[226:227], s[8:9]
	v_add_f64 v[76:77], v[106:107], v[76:77]
	v_fmac_f64_e32 v[108:109], s[28:29], v[4:5]
	v_add_f64 v[100:101], v[102:103], v[100:101]
	v_fma_f64 v[102:103], v[194:195], s[22:23], -v[138:139]
	v_add_f64 v[96:97], v[98:99], v[96:97]
	v_fma_f64 v[98:99], s[30:31], v[124:125], v[128:129]
	v_add_f64 v[76:77], v[108:109], v[76:77]
	v_fmac_f64_e32 v[110:111], s[38:39], v[120:121]
	v_add_f64 v[100:101], v[102:103], v[100:101]
	v_fma_f64 v[102:103], v[208:209], s[18:19], -v[140:141]
	v_add_f64 v[98:99], v[98:99], v[78:79]
	v_mul_f64 v[78:79], v[126:127], s[56:57]
	v_add_f64 v[76:77], v[110:111], v[76:77]
	v_add_f64 v[100:101], v[102:103], v[100:101]
	v_fma_f64 v[102:103], v[214:215], s[20:21], -v[142:143]
	v_fmac_f64_e32 v[128:129], s[56:57], v[124:125]
	v_add_f64 v[100:101], v[102:103], v[100:101]
	v_add_f64 v[102:103], v[128:129], v[76:77]
	v_fma_f64 v[76:77], v[224:225], s[8:9], -v[78:79]
	v_add_f64 v[100:101], v[76:77], v[100:101]
	v_mul_f64 v[76:77], v[154:155], s[24:25]
	v_fma_f64 v[146:147], s[8:9], v[224:225], v[78:79]
	v_fma_f64 v[78:79], s[42:43], v[116:117], v[76:77]
	v_mul_f64 v[108:109], v[164:165], s[26:27]
	v_add_f64 v[78:79], v[10:11], v[78:79]
	v_fma_f64 v[104:105], s[48:49], v[118:119], v[108:109]
	v_mul_f64 v[110:111], v[176:177], s[18:19]
	v_add_f64 v[78:79], v[104:105], v[78:79]
	;; [unrolled: 3-line block ×10, first 2 shown]
	v_add_f64 v[104:105], v[106:107], v[104:105]
	v_fma_f64 v[106:107], s[8:9], v[186:187], v[142:143]
	v_mul_f64 v[146:147], v[0:1], s[38:39]
	v_add_f64 v[104:105], v[106:107], v[104:105]
	v_fma_f64 v[106:107], s[20:21], v[194:195], v[146:147]
	v_mul_f64 v[148:149], v[6:7], s[60:61]
	;; [unrolled: 3-line block ×4, first 2 shown]
	v_add_f64 v[104:105], v[106:107], v[104:105]
	v_fma_f64 v[106:107], s[58:59], v[124:125], v[156:157]
	v_add_f64 v[106:107], v[106:107], v[78:79]
	v_mul_f64 v[78:79], v[126:127], s[40:41]
	v_fmac_f64_e32 v[76:77], s[50:51], v[116:117]
	v_fma_f64 v[80:81], s[16:17], v[224:225], v[78:79]
	v_fmac_f64_e32 v[108:109], s[52:53], v[118:119]
	v_add_f64 v[76:77], v[10:11], v[76:77]
	v_fma_f64 v[82:83], v[152:153], s[24:25], -v[136:137]
	v_add_f64 v[104:105], v[80:81], v[104:105]
	v_add_f64 v[76:77], v[108:109], v[76:77]
	v_fmac_f64_e32 v[110:111], s[46:47], v[228:229]
	v_fma_f64 v[80:81], v[162:163], s[26:27], -v[138:139]
	v_add_f64 v[82:83], v[8:9], v[82:83]
	v_add_f64 v[76:77], v[110:111], v[76:77]
	v_fmac_f64_e32 v[128:129], s[30:31], v[238:239]
	v_add_f64 v[80:81], v[80:81], v[82:83]
	v_fma_f64 v[82:83], v[174:175], s[18:19], -v[140:141]
	v_add_f64 v[76:77], v[128:129], v[76:77]
	v_fmac_f64_e32 v[130:131], s[38:39], v[248:249]
	v_add_f64 v[80:81], v[82:83], v[80:81]
	v_fma_f64 v[82:83], v[186:187], s[8:9], -v[142:143]
	;; [unrolled: 4-line block ×4, first 2 shown]
	v_add_f64 v[76:77], v[134:135], v[76:77]
	v_add_f64 v[80:81], v[82:83], v[80:81]
	v_fma_f64 v[82:83], v[214:215], s[0:1], -v[150:151]
	v_fmac_f64_e32 v[156:157], s[40:41], v[124:125]
	v_add_f64 v[80:81], v[82:83], v[80:81]
	v_add_f64 v[110:111], v[156:157], v[76:77]
	v_fma_f64 v[76:77], v[224:225], s[16:17], -v[78:79]
	v_add_f64 v[108:109], v[76:77], v[80:81]
	v_mul_f64 v[76:77], v[154:155], s[22:23]
	v_fma_f64 v[78:79], s[60:61], v[116:117], v[76:77]
	v_mul_f64 v[80:81], v[164:165], s[20:21]
	v_add_f64 v[78:79], v[10:11], v[78:79]
	v_fma_f64 v[82:83], s[44:45], v[118:119], v[80:81]
	v_add_f64 v[78:79], v[82:83], v[78:79]
	v_mul_f64 v[82:83], v[176:177], s[24:25]
	v_fma_f64 v[128:129], s[50:51], v[228:229], v[82:83]
	v_add_f64 v[78:79], v[128:129], v[78:79]
	v_mul_f64 v[128:129], v[188:189], s[0:1]
	;; [unrolled: 3-line block ×5, first 2 shown]
	v_fmac_f64_e32 v[76:77], s[34:35], v[116:117]
	v_fma_f64 v[136:137], s[40:41], v[120:121], v[134:135]
	v_mul_f64 v[138:139], v[112:113], s[34:35]
	v_fmac_f64_e32 v[132:133], s[48:49], v[4:5]
	v_fmac_f64_e32 v[80:81], s[38:39], v[118:119]
	v_add_f64 v[4:5], v[10:11], v[76:77]
	v_add_f64 v[78:79], v[136:137], v[78:79]
	v_mul_f64 v[136:137], v[114:115], s[38:39]
	v_fma_f64 v[112:113], s[22:23], v[152:153], v[138:139]
	v_add_f64 v[4:5], v[80:81], v[4:5]
	v_fma_f64 v[80:81], v[152:153], s[22:23], -v[138:139]
	v_add_f64 v[112:113], v[8:9], v[112:113]
	v_fma_f64 v[114:115], s[20:21], v[162:163], v[136:137]
	v_mul_f64 v[140:141], v[240:241], s[42:43]
	v_fma_f64 v[76:77], v[162:163], s[20:21], -v[136:137]
	v_add_f64 v[80:81], v[8:9], v[80:81]
	v_add_f64 v[112:113], v[114:115], v[112:113]
	v_fma_f64 v[114:115], s[24:25], v[174:175], v[140:141]
	v_mul_f64 v[142:143], v[246:247], s[54:55]
	v_add_f64 v[76:77], v[76:77], v[80:81]
	v_fma_f64 v[80:81], v[174:175], s[24:25], -v[140:141]
	v_add_f64 v[112:113], v[114:115], v[112:113]
	v_fma_f64 v[114:115], s[0:1], v[186:187], v[142:143]
	v_mul_f64 v[0:1], v[0:1], s[30:31]
	v_add_f64 v[76:77], v[80:81], v[76:77]
	v_fma_f64 v[80:81], v[186:187], s[0:1], -v[142:143]
	;; [unrolled: 5-line block ×4, first 2 shown]
	v_add_f64 v[112:113], v[114:115], v[112:113]
	v_fma_f64 v[114:115], s[16:17], v[214:215], v[122:123]
	v_fmac_f64_e32 v[82:83], s[42:43], v[228:229]
	v_add_f64 v[0:1], v[6:7], v[0:1]
	v_fma_f64 v[6:7], v[214:215], s[16:17], -v[122:123]
	v_mul_f64 v[122:123], v[152:153], s[8:9]
	v_fmac_f64_e32 v[128:129], s[54:55], v[238:239]
	v_add_f64 v[4:5], v[82:83], v[4:5]
	v_add_f64 v[122:123], v[122:123], -v[158:159]
	v_accvgpr_read_b32 v159, a47
	v_fmac_f64_e32 v[130:131], s[30:31], v[248:249]
	v_add_f64 v[4:5], v[128:129], v[4:5]
	v_mul_f64 v[148:149], v[176:177], s[16:17]
	v_accvgpr_read_b32 v158, a46
	v_mul_f64 v[146:147], v[226:227], s[18:19]
	v_add_f64 v[4:5], v[130:131], v[4:5]
	v_add_f64 v[148:149], v[158:159], v[148:149]
	v_accvgpr_read_b32 v159, a45
	v_add_f64 v[112:113], v[114:115], v[112:113]
	v_fma_f64 v[114:115], s[28:29], v[124:125], v[146:147]
	v_fmac_f64_e32 v[134:135], s[58:59], v[120:121]
	v_add_f64 v[4:5], v[132:133], v[4:5]
	v_mul_f64 v[82:83], v[154:155], s[8:9]
	v_mul_f64 v[136:137], v[164:165], s[22:23]
	v_accvgpr_read_b32 v158, a44
	v_add_f64 v[114:115], v[114:115], v[78:79]
	v_mul_f64 v[78:79], v[126:127], s[46:47]
	v_fmac_f64_e32 v[146:147], s[46:47], v[124:125]
	v_add_f64 v[4:5], v[134:135], v[4:5]
	v_mul_f64 v[80:81], v[164:165], s[16:17]
	v_add_f64 v[82:83], v[180:181], v[82:83]
	v_add_f64 v[136:137], v[158:159], v[136:137]
	v_accvgpr_read_b32 v159, a43
	v_fma_f64 v[126:127], s[18:19], v[224:225], v[78:79]
	v_add_f64 v[118:119], v[146:147], v[4:5]
	v_fma_f64 v[4:5], v[224:225], s[18:19], -v[78:79]
	v_mul_f64 v[78:79], v[176:177], s[20:21]
	v_add_f64 v[80:81], v[206:207], v[80:81]
	v_add_f64 v[82:83], v[10:11], v[82:83]
	v_mul_f64 v[120:121], v[154:155], s[18:19]
	v_accvgpr_read_b32 v158, a42
	v_mul_f64 v[76:77], v[188:189], s[24:25]
	v_add_f64 v[78:79], v[222:223], v[78:79]
	v_add_f64 v[80:81], v[80:81], v[82:83]
	;; [unrolled: 1-line block ×6, first 2 shown]
	v_mul_f64 v[82:83], v[152:153], s[0:1]
	v_add_f64 v[76:77], v[76:77], v[78:79]
	v_mul_f64 v[78:79], v[152:153], s[18:19]
	v_mul_f64 v[152:153], v[188:189], s[20:21]
	v_add_f64 v[120:121], v[136:137], v[120:121]
	v_add_f64 v[152:153], v[160:161], v[152:153]
	;; [unrolled: 1-line block ×4, first 2 shown]
	v_accvgpr_read_b32 v153, a51
	v_mul_f64 v[150:151], v[186:187], s[20:21]
	v_accvgpr_read_b32 v152, a50
	v_add_f64 v[150:151], v[150:151], -v[152:153]
	v_accvgpr_read_b32 v153, a41
	v_mul_f64 v[146:147], v[174:175], s[16:17]
	v_accvgpr_read_b32 v152, a40
	v_add_f64 v[146:147], v[146:147], -v[152:153]
	;; [unrolled: 4-line block ×3, first 2 shown]
	v_accvgpr_read_b32 v153, a35
	v_accvgpr_read_b32 v152, a34
	v_add_f64 v[78:79], v[78:79], -v[152:153]
	v_add_f64 v[78:79], v[8:9], v[78:79]
	v_add_f64 v[0:1], v[6:7], v[0:1]
	v_mul_f64 v[6:7], v[196:197], s[18:19]
	v_add_f64 v[78:79], v[134:135], v[78:79]
	v_add_f64 v[6:7], v[242:243], v[6:7]
	v_mul_f64 v[80:81], v[154:155], s[0:1]
	v_mul_f64 v[154:155], v[194:195], s[26:27]
	v_add_f64 v[78:79], v[146:147], v[78:79]
	v_add_f64 v[6:7], v[6:7], v[76:77]
	v_mul_f64 v[76:77], v[162:163], s[18:19]
	v_mul_f64 v[138:139], v[162:163], s[16:17]
	;; [unrolled: 1-line block ×3, first 2 shown]
	v_add_f64 v[148:149], v[154:155], -v[168:169]
	v_add_f64 v[78:79], v[150:151], v[78:79]
	v_add_f64 v[136:137], v[162:163], -v[184:185]
	v_add_f64 v[78:79], v[148:149], v[78:79]
	v_add_f64 v[78:79], v[136:137], v[78:79]
	v_accvgpr_read_b32 v137, a31
	v_mul_f64 v[124:125], v[164:165], s[18:19]
	v_accvgpr_read_b32 v136, a30
	v_add_f64 v[124:125], v[136:137], v[124:125]
	v_accvgpr_read_b32 v137, a27
	v_accvgpr_read_b32 v136, a26
	v_mul_f64 v[132:133], v[174:175], s[20:21]
	v_add_f64 v[138:139], v[138:139], -v[178:179]
	v_add_f64 v[122:123], v[8:9], v[122:123]
	v_add_f64 v[80:81], v[136:137], v[80:81]
	v_mul_f64 v[130:131], v[186:187], s[24:25]
	v_add_f64 v[132:133], v[132:133], -v[198:199]
	v_add_f64 v[122:123], v[138:139], v[122:123]
	v_add_f64 v[80:81], v[10:11], v[80:81]
	v_add_f64 v[130:131], v[130:131], -v[218:219]
	v_add_f64 v[122:123], v[132:133], v[122:123]
	v_add_f64 v[80:81], v[124:125], v[80:81]
	v_accvgpr_read_b32 v125, a49
	v_add_f64 v[122:123], v[130:131], v[122:123]
	v_mul_f64 v[130:131], v[194:195], s[24:25]
	v_accvgpr_read_b32 v124, a48
	v_add_f64 v[124:125], v[130:131], -v[124:125]
	v_accvgpr_read_b32 v131, a21
	v_accvgpr_read_b32 v130, a20
	v_mul_f64 v[128:129], v[194:195], s[18:19]
	v_add_f64 v[76:77], v[76:77], -v[130:131]
	v_accvgpr_read_b32 v131, a19
	v_add_f64 v[128:129], v[128:129], -v[232:233]
	v_accvgpr_read_b32 v135, a55
	v_accvgpr_read_b32 v130, a18
	v_add_f64 v[116:117], v[4:5], v[0:1]
	v_mul_f64 v[4:5], v[212:213], s[22:23]
	v_add_f64 v[122:123], v[128:129], v[122:123]
	v_mul_f64 v[128:129], v[196:197], s[24:25]
	v_accvgpr_read_b32 v134, a54
	v_add_f64 v[82:83], v[82:83], -v[130:131]
	v_add_f64 v[2:3], v[2:3], v[4:5]
	v_mul_f64 v[4:5], v[210:211], s[0:1]
	v_add_f64 v[128:129], v[134:135], v[128:129]
	v_accvgpr_read_b32 v135, a37
	v_add_f64 v[82:83], v[8:9], v[82:83]
	v_add_f64 v[10:11], v[10:11], v[14:15]
	;; [unrolled: 1-line block ×5, first 2 shown]
	v_mul_f64 v[126:127], v[208:209], s[0:1]
	v_mul_f64 v[132:133], v[188:189], s[22:23]
	v_accvgpr_read_b32 v134, a36
	v_add_f64 v[10:11], v[10:11], v[18:19]
	v_add_f64 v[8:9], v[8:9], v[16:17]
	;; [unrolled: 1-line block ×3, first 2 shown]
	v_mul_f64 v[6:7], v[214:215], s[22:23]
	v_add_f64 v[126:127], v[126:127], -v[236:237]
	v_add_f64 v[132:133], v[134:135], v[132:133]
	v_accvgpr_read_b32 v135, a33
	v_add_f64 v[10:11], v[10:11], v[22:23]
	v_add_f64 v[8:9], v[8:9], v[20:21]
	v_mul_f64 v[0:1], v[226:227], s[26:27]
	v_add_f64 v[2:3], v[2:3], v[4:5]
	v_mul_f64 v[4:5], v[224:225], s[26:27]
	v_add_f64 v[6:7], v[6:7], -v[244:245]
	v_mul_f64 v[142:143], v[176:177], s[8:9]
	v_mul_f64 v[156:157], v[196:197], s[26:27]
	v_add_f64 v[122:123], v[126:127], v[122:123]
	v_accvgpr_read_b32 v134, a32
	v_add_f64 v[10:11], v[10:11], v[26:27]
	v_add_f64 v[8:9], v[8:9], v[24:25]
	;; [unrolled: 1-line block ×3, first 2 shown]
	v_add_f64 v[4:5], v[4:5], -v[252:253]
	v_add_f64 v[6:7], v[6:7], v[122:123]
	v_mul_f64 v[164:165], v[210:211], s[24:25]
	v_add_f64 v[156:157], v[182:183], v[156:157]
	v_add_f64 v[134:135], v[134:135], v[142:143]
	;; [unrolled: 1-line block ×6, first 2 shown]
	v_mul_f64 v[6:7], v[212:213], s[8:9]
	v_add_f64 v[164:165], v[200:201], v[164:165]
	v_add_f64 v[120:121], v[156:157], v[120:121]
	;; [unrolled: 1-line block ×5, first 2 shown]
	v_mul_f64 v[122:123], v[210:211], s[16:17]
	v_mul_f64 v[178:179], v[214:215], s[8:9]
	v_add_f64 v[6:7], v[220:221], v[6:7]
	v_add_f64 v[120:121], v[164:165], v[120:121]
	;; [unrolled: 1-line block ×5, first 2 shown]
	v_mul_f64 v[176:177], v[212:213], s[26:27]
	v_add_f64 v[6:7], v[6:7], v[120:121]
	v_add_f64 v[120:121], v[178:179], -v[202:203]
	v_add_f64 v[122:123], v[170:171], v[122:123]
	v_add_f64 v[80:81], v[128:129], v[80:81]
	;; [unrolled: 1-line block ×4, first 2 shown]
	v_mul_f64 v[126:127], v[208:209], s[16:17]
	v_add_f64 v[78:79], v[120:121], v[78:79]
	v_add_f64 v[120:121], v[190:191], v[176:177]
	;; [unrolled: 1-line block ×3, first 2 shown]
	v_accvgpr_read_b32 v129, a29
	v_add_f64 v[10:11], v[10:11], v[46:47]
	v_add_f64 v[8:9], v[8:9], v[44:45]
	v_mul_f64 v[140:141], v[174:175], s[8:9]
	v_add_f64 v[80:81], v[120:121], v[80:81]
	v_add_f64 v[120:121], v[126:127], -v[166:167]
	v_accvgpr_read_b32 v127, a53
	v_accvgpr_read_b32 v128, a28
	v_add_f64 v[10:11], v[10:11], v[50:51]
	v_add_f64 v[8:9], v[8:9], v[48:49]
	v_mul_f64 v[138:139], v[186:187], s[22:23]
	v_mul_f64 v[4:5], v[226:227], s[0:1]
	v_accvgpr_read_b32 v126, a52
	v_add_f64 v[128:129], v[140:141], -v[128:129]
	v_add_f64 v[76:77], v[76:77], v[82:83]
	v_add_f64 v[10:11], v[10:11], v[54:55]
	;; [unrolled: 1-line block ×4, first 2 shown]
	v_mul_f64 v[188:189], v[224:225], s[0:1]
	v_add_f64 v[126:127], v[138:139], -v[126:127]
	v_add_f64 v[76:77], v[128:129], v[76:77]
	v_add_f64 v[10:11], v[10:11], v[58:59]
	;; [unrolled: 1-line block ×3, first 2 shown]
	v_mul_f64 v[186:187], v[226:227], s[20:21]
	v_add_f64 v[6:7], v[4:5], v[6:7]
	v_add_f64 v[4:5], v[188:189], -v[216:217]
	v_add_f64 v[76:77], v[126:127], v[76:77]
	v_add_f64 v[10:11], v[10:11], v[62:63]
	;; [unrolled: 1-line block ×3, first 2 shown]
	v_accvgpr_read_b32 v13, a3
	v_mul_f64 v[174:175], v[214:215], s[26:27]
	v_add_f64 v[4:5], v[4:5], v[78:79]
	v_add_f64 v[78:79], v[204:205], v[186:187]
	;; [unrolled: 1-line block ×5, first 2 shown]
	v_accvgpr_read_b32 v12, a2
	v_mul_f64 v[180:181], v[224:225], s[20:21]
	v_add_f64 v[122:123], v[78:79], v[80:81]
	v_add_f64 v[80:81], v[174:175], -v[172:173]
	v_add_f64 v[76:77], v[120:121], v[76:77]
	v_add_f64 v[10:11], v[10:11], v[70:71]
	;; [unrolled: 1-line block ×3, first 2 shown]
	v_mul_lo_u16_e32 v12, 17, v12
	v_add_f64 v[78:79], v[180:181], -v[192:193]
	v_add_f64 v[76:77], v[80:81], v[76:77]
	v_add_f64 v[10:11], v[10:11], v[74:75]
	;; [unrolled: 1-line block ×3, first 2 shown]
	v_add_lshl_u32 v12, v144, v12, 4
	v_add_f64 v[120:121], v[78:79], v[76:77]
	ds_write_b128 v12, v[8:11]
	ds_write_b128 v12, v[120:123] offset:16
	ds_write_b128 v12, v[4:7] offset:32
	;; [unrolled: 1-line block ×16, first 2 shown]
.LBB0_7:
	s_or_b64 exec, exec, s[10:11]
	v_accvgpr_read_b32 v43, a3
	s_mov_b64 s[0:1], 0xff
	v_accvgpr_read_b32 v42, a2
	v_lshl_add_u64 v[4:5], v[42:43], 0, s[0:1]
	s_mov_b64 s[0:1], 0x154
	v_lshl_add_u64 v[6:7], v[42:43], 0, s[0:1]
	s_mov_b64 s[0:1], 0x1a9
	v_lshl_add_u64 v[8:9], v[42:43], 0, s[0:1]
	s_mov_b64 s[0:1], 0x1fe
	v_lshl_add_u64 v[10:11], v[42:43], 0, s[0:1]
	s_movk_i32 s0, 0xf1
	v_mul_lo_u16_sdwa v3, v42, s0 dst_sel:DWORD dst_unused:UNUSED_PAD src0_sel:BYTE_0 src1_sel:DWORD
	v_add_u16_e32 v1, 0x55, v42
	v_lshrrev_b16_e32 v28, 12, v3
	v_mul_lo_u16_sdwa v2, v1, s0 dst_sel:DWORD dst_unused:UNUSED_PAD src0_sel:BYTE_0 src1_sel:DWORD
	v_mul_lo_u16_e32 v0, 17, v28
	v_lshrrev_b16_e32 v30, 12, v2
	v_sub_u16_e32 v29, v42, v0
	v_mov_b32_e32 v5, 4
	v_mul_lo_u16_e32 v7, 17, v30
	v_lshlrev_b32_sdwa v0, v5, v29 dst_sel:DWORD dst_unused:UNUSED_PAD src0_sel:DWORD src1_sel:BYTE_0
	v_sub_u16_e32 v31, v1, v7
	v_add_u16_e32 v53, 0xaa, v42
	s_load_dwordx4 s[8:11], s[2:3], 0x0
	s_waitcnt lgkmcnt(0)
	s_barrier
	v_lshlrev_b32_sdwa v7, v5, v31 dst_sel:DWORD dst_unused:UNUSED_PAD src0_sel:DWORD src1_sel:BYTE_0
	global_load_dwordx4 v[48:51], v0, s[6:7]
	global_load_dwordx4 v[44:47], v7, s[6:7]
	v_mul_lo_u16_sdwa v0, v53, s0 dst_sel:DWORD dst_unused:UNUSED_PAD src0_sel:BYTE_0 src1_sel:DWORD
	v_lshrrev_b16_e32 v32, 12, v0
	v_mul_lo_u16_e32 v7, 17, v32
	s_mov_b32 s0, 0xf0f1
	v_sub_u16_e32 v33, v53, v7
	v_mul_u32_u24_sdwa v7, v4, s0 dst_sel:DWORD dst_unused:UNUSED_PAD src0_sel:WORD_0 src1_sel:DWORD
	v_lshrrev_b32_e32 v34, 20, v7
	v_mul_lo_u16_e32 v7, 17, v34
	v_sub_u16_e32 v35, v4, v7
	v_lshlrev_b32_sdwa v5, v5, v33 dst_sel:DWORD dst_unused:UNUSED_PAD src0_sel:DWORD src1_sel:BYTE_0
	v_lshlrev_b32_e32 v4, 4, v35
	global_load_dwordx4 v[106:109], v5, s[6:7]
	global_load_dwordx4 v[102:105], v4, s[6:7]
	v_mul_u32_u24_sdwa v4, v6, s0 dst_sel:DWORD dst_unused:UNUSED_PAD src0_sel:WORD_0 src1_sel:DWORD
	v_lshrrev_b32_e32 v36, 20, v4
	v_mul_u32_u24_sdwa v5, v8, s0 dst_sel:DWORD dst_unused:UNUSED_PAD src0_sel:WORD_0 src1_sel:DWORD
	v_mul_lo_u16_e32 v4, 17, v36
	v_lshrrev_b32_e32 v38, 20, v5
	v_sub_u16_e32 v37, v6, v4
	v_mul_lo_u16_e32 v5, 17, v38
	v_lshlrev_b32_e32 v4, 4, v37
	v_sub_u16_e32 v39, v8, v5
	global_load_dwordx4 v[114:117], v4, s[6:7]
	v_lshlrev_b32_e32 v4, 4, v39
	global_load_dwordx4 v[110:113], v4, s[6:7]
	v_mul_u32_u24_sdwa v4, v10, s0 dst_sel:DWORD dst_unused:UNUSED_PAD src0_sel:WORD_0 src1_sel:DWORD
	v_lshrrev_b32_e32 v40, 20, v4
	v_mul_lo_u16_e32 v4, 17, v40
	v_sub_u16_e32 v41, v10, v4
	v_lshlrev_b32_e32 v4, 4, v41
	global_load_dwordx4 v[118:121], v4, s[6:7]
	v_add_lshl_u32 v52, v144, v42, 4
	ds_read_b128 v[4:7], v52 offset:9520
	ds_read_b128 v[8:11], v52
	ds_read_b128 v[12:15], v52 offset:1360
	ds_read_b128 v[16:19], v52 offset:10880
	;; [unrolled: 1-line block ×12, first 2 shown]
	s_waitcnt lgkmcnt(0)
	s_barrier
	s_movk_i32 s0, 0x44
	v_cmp_gt_u16_e64 s[2:3], s0, v42
	s_waitcnt vmcnt(6)
	v_mul_f64 v[26:27], v[4:5], v[50:51]
	v_mul_f64 v[24:25], v[6:7], v[50:51]
	v_fmac_f64_e32 v[26:27], v[6:7], v[48:49]
	s_waitcnt vmcnt(5)
	v_mul_f64 v[82:83], v[18:19], v[46:47]
	v_fma_f64 v[4:5], v[4:5], v[48:49], -v[24:25]
	v_mul_f64 v[96:97], v[16:17], v[46:47]
	v_fma_f64 v[16:17], v[16:17], v[44:45], -v[82:83]
	v_add_f64 v[4:5], v[8:9], -v[4:5]
	v_fma_f64 v[8:9], v[8:9], 2.0, -v[4:5]
	v_fmac_f64_e32 v[96:97], v[18:19], v[44:45]
	v_add_f64 v[16:17], v[12:13], -v[16:17]
	v_add_f64 v[18:19], v[14:15], -v[96:97]
	v_fma_f64 v[12:13], v[12:13], 2.0, -v[16:17]
	s_waitcnt vmcnt(4)
	v_mul_f64 v[98:99], v[22:23], v[108:109]
	s_waitcnt vmcnt(3)
	v_mul_f64 v[6:7], v[64:65], v[104:105]
	v_fma_f64 v[24:25], v[20:21], v[106:107], -v[98:99]
	v_fma_f64 v[98:99], v[62:63], v[102:103], -v[6:7]
	v_mul_f64 v[100:101], v[62:63], v[104:105]
	v_accvgpr_write_b32 a30, v102
	v_mul_f64 v[82:83], v[20:21], v[108:109]
	v_accvgpr_write_b32 a34, v106
	v_accvgpr_write_b32 a31, v103
	;; [unrolled: 1-line block ×4, first 2 shown]
	s_waitcnt vmcnt(2)
	v_mul_f64 v[6:7], v[68:69], v[116:117]
	v_fmac_f64_e32 v[100:101], v[64:65], v[102:103]
	v_fma_f64 v[102:103], v[66:67], v[114:115], -v[6:7]
	s_waitcnt vmcnt(1)
	v_mul_f64 v[6:7], v[90:91], v[112:113]
	v_add_f64 v[20:21], v[54:55], -v[24:25]
	v_mul_lo_u16_e32 v24, 34, v28
	v_accvgpr_write_b32 a35, v107
	v_accvgpr_write_b32 a36, v108
	v_accvgpr_write_b32 a37, v109
	v_fmac_f64_e32 v[82:83], v[22:23], v[106:107]
	v_fma_f64 v[106:107], v[88:89], v[110:111], -v[6:7]
	s_waitcnt vmcnt(0)
	v_mul_f64 v[6:7], v[94:95], v[120:121]
	v_and_b32_e32 v24, 0xfe, v24
	v_fma_f64 v[108:109], v[92:93], v[118:119], -v[6:7]
	v_add_f64 v[6:7], v[10:11], -v[26:27]
	v_add_u32_sdwa v24, v24, v29 dst_sel:DWORD dst_unused:UNUSED_PAD src0_sel:DWORD src1_sel:BYTE_0
	v_fma_f64 v[10:11], v[10:11], 2.0, -v[6:7]
	v_add_lshl_u32 v238, v144, v24, 4
	ds_write_b128 v238, v[8:11]
	ds_write_b128 v238, v[4:7] offset:272
	v_mul_u32_u24_e32 v4, 34, v30
	v_add_u32_sdwa v4, v4, v31 dst_sel:DWORD dst_unused:UNUSED_PAD src0_sel:DWORD src1_sel:BYTE_0
	v_add_lshl_u32 v239, v144, v4, 4
	v_mul_u32_u24_e32 v4, 34, v32
	v_add_f64 v[22:23], v[56:57], -v[82:83]
	v_add_u32_sdwa v4, v4, v33 dst_sel:DWORD dst_unused:UNUSED_PAD src0_sel:DWORD src1_sel:BYTE_0
	v_fma_f64 v[14:15], v[14:15], 2.0, -v[18:19]
	v_fma_f64 v[54:55], v[54:55], 2.0, -v[20:21]
	;; [unrolled: 1-line block ×3, first 2 shown]
	v_add_lshl_u32 v4, v144, v4, 4
	v_add_f64 v[62:63], v[58:59], -v[98:99]
	v_add_f64 v[64:65], v[60:61], -v[100:101]
	ds_write_b128 v239, v[12:15]
	ds_write_b128 v239, v[16:19] offset:272
	ds_write_b128 v4, v[54:57]
	v_accvgpr_write_b32 a52, v4
	ds_write_b128 v4, v[20:23] offset:272
	v_mad_legacy_u16 v4, v34, 34, v35
	v_fma_f64 v[58:59], v[58:59], 2.0, -v[62:63]
	v_fma_f64 v[60:61], v[60:61], 2.0, -v[64:65]
	v_add_lshl_u32 v4, v144, v4, 4
	v_mul_f64 v[104:105], v[66:67], v[116:117]
	v_mul_f64 v[88:89], v[88:89], v[112:113]
	;; [unrolled: 1-line block ×3, first 2 shown]
	ds_write_b128 v4, v[58:61]
	v_accvgpr_write_b32 a53, v4
	ds_write_b128 v4, v[62:65] offset:272
	v_mad_legacy_u16 v4, v36, 34, v37
	v_fmac_f64_e32 v[104:105], v[68:69], v[114:115]
	v_accvgpr_write_b32 a38, v110
	v_fmac_f64_e32 v[88:89], v[90:91], v[110:111]
	v_fmac_f64_e32 v[92:93], v[94:95], v[118:119]
	v_add_lshl_u32 v62, v144, v4, 4
	v_mad_legacy_u16 v4, v38, 34, v39
	v_accvgpr_write_b32 a39, v111
	v_accvgpr_write_b32 a40, v112
	;; [unrolled: 1-line block ×3, first 2 shown]
	v_add_f64 v[66:67], v[70:71], -v[102:103]
	v_add_f64 v[68:69], v[72:73], -v[104:105]
	v_add_f64 v[100:101], v[74:75], -v[106:107]
	v_add_f64 v[102:103], v[76:77], -v[88:89]
	v_add_f64 v[108:109], v[78:79], -v[108:109]
	v_add_f64 v[110:111], v[80:81], -v[92:93]
	v_add_lshl_u32 v63, v144, v4, 4
	v_mad_legacy_u16 v4, v40, 34, v41
	v_accvgpr_write_b32 a42, v114
	v_accvgpr_write_b32 a46, v118
	v_fma_f64 v[70:71], v[70:71], 2.0, -v[66:67]
	v_fma_f64 v[72:73], v[72:73], 2.0, -v[68:69]
	;; [unrolled: 1-line block ×6, first 2 shown]
	v_add_lshl_u32 v64, v144, v4, 4
	v_accvgpr_write_b32 a43, v115
	v_accvgpr_write_b32 a44, v116
	;; [unrolled: 1-line block ×6, first 2 shown]
	ds_write_b128 v62, v[70:73]
	ds_write_b128 v62, v[66:69] offset:272
	ds_write_b128 v63, v[88:91]
	ds_write_b128 v63, v[100:103] offset:272
	;; [unrolled: 2-line block ×3, first 2 shown]
	s_waitcnt lgkmcnt(0)
	s_barrier
	ds_read_b128 v[96:99], v52
	ds_read_b128 v[92:95], v52 offset:1360
	ds_read_b128 v[128:131], v52 offset:3808
	;; [unrolled: 1-line block ×9, first 2 shown]
	v_accvgpr_write_b32 a26, v48
	v_accvgpr_write_b32 a22, v44
	;; [unrolled: 1-line block ×8, first 2 shown]
	s_and_saveexec_b64 s[0:1], s[2:3]
	s_cbranch_execz .LBB0_9
; %bb.8:
	ds_read_b128 v[88:91], v52 offset:2720
	ds_read_b128 v[100:103], v52 offset:6528
	ds_read_b128 v[104:107], v52 offset:10336
	ds_read_b128 v[108:111], v52 offset:14144
	ds_read_b128 v[84:87], v52 offset:17952
.LBB0_9:
	s_or_b64 exec, exec, s[0:1]
	v_lshrrev_b16_e32 v28, 13, v3
	v_lshrrev_b16_e32 v30, 13, v2
	;; [unrolled: 1-line block ×3, first 2 shown]
	v_mul_lo_u16_e32 v3, 34, v28
	v_accvgpr_read_b32 v4, a2
	v_mul_lo_u16_e32 v2, 34, v30
	v_mul_lo_u16_e32 v0, 34, v224
	v_sub_u16_e32 v29, v4, v3
	v_mov_b32_e32 v3, 6
	v_sub_u16_e32 v31, v1, v2
	v_sub_u16_e32 v225, v53, v0
	v_lshlrev_b32_sdwa v4, v3, v29 dst_sel:DWORD dst_unused:UNUSED_PAD src0_sel:DWORD src1_sel:BYTE_0
	v_lshlrev_b32_sdwa v1, v3, v31 dst_sel:DWORD dst_unused:UNUSED_PAD src0_sel:DWORD src1_sel:BYTE_0
	v_lshlrev_b32_sdwa v0, v3, v225 dst_sel:DWORD dst_unused:UNUSED_PAD src0_sel:DWORD src1_sel:BYTE_0
	global_load_dwordx4 v[44:47], v4, s[6:7] offset:272
	global_load_dwordx4 v[40:43], v4, s[6:7] offset:288
	;; [unrolled: 1-line block ×12, first 2 shown]
	s_mov_b32 s16, 0x134454ff
	s_mov_b32 s17, 0x3fee6f0e
	;; [unrolled: 1-line block ×10, first 2 shown]
	s_waitcnt lgkmcnt(0)
	s_barrier
	s_waitcnt vmcnt(11)
	v_mul_f64 v[0:1], v[130:131], v[46:47]
	v_mul_f64 v[16:17], v[128:129], v[46:47]
	s_waitcnt vmcnt(10)
	v_mul_f64 v[2:3], v[134:135], v[42:43]
	v_mul_f64 v[18:19], v[132:133], v[42:43]
	;; [unrolled: 3-line block ×3, first 2 shown]
	s_waitcnt vmcnt(0)
	v_mul_f64 v[162:163], v[86:87], v[228:229]
	v_fma_f64 v[128:129], v[128:129], v[44:45], -v[0:1]
	v_mul_f64 v[22:23], v[140:141], v[68:69]
	v_mul_f64 v[14:15], v[84:85], v[228:229]
	v_fmac_f64_e32 v[16:17], v[130:131], v[44:45]
	v_fma_f64 v[130:131], v[132:133], v[40:41], -v[2:3]
	v_fmac_f64_e32 v[18:19], v[134:135], v[40:41]
	v_fma_f64 v[132:133], v[136:137], v[36:37], -v[4:5]
	v_fma_f64 v[134:135], v[140:141], v[66:67], -v[6:7]
	;; [unrolled: 1-line block ×3, first 2 shown]
	v_add_f64 v[84:85], v[96:97], v[128:129]
	v_mul_f64 v[20:21], v[136:137], v[38:39]
	v_mul_f64 v[156:157], v[102:103], v[232:233]
	;; [unrolled: 1-line block ×5, first 2 shown]
	v_fmac_f64_e32 v[22:23], v[142:143], v[66:67]
	v_fmac_f64_e32 v[14:15], v[86:87], v[226:227]
	v_add_f64 v[86:87], v[130:131], v[132:133]
	v_add_f64 v[84:85], v[84:85], v[130:131]
	v_mul_f64 v[24:25], v[114:115], v[82:83]
	v_mul_f64 v[8:9], v[100:101], v[232:233]
	;; [unrolled: 1-line block ×3, first 2 shown]
	v_fmac_f64_e32 v[20:21], v[138:139], v[36:37]
	v_fma_f64 v[0:1], v[100:101], v[230:231], -v[156:157]
	v_fma_f64 v[2:3], v[104:105], v[32:33], -v[158:159]
	v_fmac_f64_e32 v[10:11], v[106:107], v[32:33]
	v_fma_f64 v[4:5], v[108:109], v[234:235], -v[160:161]
	v_add_f64 v[100:101], v[16:17], -v[22:23]
	v_add_f64 v[106:107], v[128:129], -v[130:131]
	v_add_f64 v[108:109], v[134:135], -v[132:133]
	v_fma_f64 v[104:105], -0.5, v[86:87], v[96:97]
	v_add_f64 v[84:85], v[84:85], v[132:133]
	v_mul_f64 v[26:27], v[112:113], v[82:83]
	v_fma_f64 v[24:25], v[112:113], v[80:81], -v[24:25]
	v_fmac_f64_e32 v[8:9], v[102:103], v[230:231]
	v_add_f64 v[102:103], v[18:19], -v[20:21]
	v_add_f64 v[86:87], v[106:107], v[108:109]
	v_fma_f64 v[108:109], s[16:17], v[100:101], v[104:105]
	v_add_f64 v[112:113], v[84:85], v[134:135]
	v_fmac_f64_e32 v[104:105], s[20:21], v[100:101]
	v_add_f64 v[84:85], v[128:129], v[134:135]
	v_mul_f64 v[54:55], v[118:119], v[78:79]
	v_fmac_f64_e32 v[108:109], s[0:1], v[102:103]
	v_fmac_f64_e32 v[104:105], s[22:23], v[102:103]
	v_fmac_f64_e32 v[96:97], -0.5, v[84:85]
	v_mul_f64 v[146:147], v[116:117], v[78:79]
	v_fma_f64 v[54:55], v[116:117], v[76:77], -v[54:55]
	v_fmac_f64_e32 v[108:109], s[18:19], v[86:87]
	v_fmac_f64_e32 v[104:105], s[18:19], v[86:87]
	v_fma_f64 v[116:117], s[20:21], v[102:103], v[96:97]
	v_add_f64 v[84:85], v[130:131], -v[128:129]
	v_add_f64 v[86:87], v[132:133], -v[134:135]
	v_fmac_f64_e32 v[96:97], s[16:17], v[102:103]
	v_fmac_f64_e32 v[116:117], s[0:1], v[100:101]
	v_add_f64 v[84:85], v[84:85], v[86:87]
	v_fmac_f64_e32 v[96:97], s[22:23], v[100:101]
	v_fmac_f64_e32 v[116:117], s[18:19], v[84:85]
	;; [unrolled: 1-line block ×3, first 2 shown]
	v_add_f64 v[84:85], v[98:99], v[16:17]
	v_add_f64 v[84:85], v[84:85], v[18:19]
	;; [unrolled: 1-line block ×3, first 2 shown]
	v_fmac_f64_e32 v[26:27], v[114:115], v[80:81]
	v_add_f64 v[114:115], v[84:85], v[22:23]
	v_add_f64 v[84:85], v[18:19], v[20:21]
	v_fma_f64 v[106:107], -0.5, v[84:85], v[98:99]
	v_add_f64 v[84:85], v[128:129], -v[134:135]
	v_fmac_f64_e32 v[12:13], v[110:111], v[234:235]
	v_fma_f64 v[110:111], s[20:21], v[84:85], v[106:107]
	v_add_f64 v[86:87], v[130:131], -v[132:133]
	v_add_f64 v[100:101], v[16:17], -v[18:19]
	v_add_f64 v[102:103], v[22:23], -v[20:21]
	v_fmac_f64_e32 v[106:107], s[16:17], v[84:85]
	v_fmac_f64_e32 v[110:111], s[22:23], v[86:87]
	v_add_f64 v[100:101], v[100:101], v[102:103]
	v_fmac_f64_e32 v[106:107], s[0:1], v[86:87]
	v_fmac_f64_e32 v[110:111], s[18:19], v[100:101]
	;; [unrolled: 1-line block ×3, first 2 shown]
	v_add_f64 v[100:101], v[16:17], v[22:23]
	v_fmac_f64_e32 v[98:99], -0.5, v[100:101]
	v_fmac_f64_e32 v[146:147], v[118:119], v[76:77]
	v_fma_f64 v[118:119], s[16:17], v[86:87], v[98:99]
	v_add_f64 v[16:17], v[18:19], -v[16:17]
	v_add_f64 v[18:19], v[20:21], -v[22:23]
	v_fmac_f64_e32 v[98:99], s[20:21], v[86:87]
	v_fmac_f64_e32 v[118:119], s[22:23], v[84:85]
	v_add_f64 v[16:17], v[16:17], v[18:19]
	v_fmac_f64_e32 v[98:99], s[0:1], v[84:85]
	v_mul_f64 v[148:149], v[122:123], v[74:75]
	v_fmac_f64_e32 v[118:119], s[18:19], v[16:17]
	v_fmac_f64_e32 v[98:99], s[18:19], v[16:17]
	v_add_f64 v[16:17], v[92:93], v[24:25]
	v_mul_f64 v[152:153], v[126:127], v[50:51]
	v_fma_f64 v[138:139], v[120:121], v[72:73], -v[148:149]
	v_add_f64 v[16:17], v[16:17], v[54:55]
	v_mul_f64 v[154:155], v[124:125], v[50:51]
	v_fma_f64 v[140:141], v[124:125], v[48:49], -v[152:153]
	v_add_f64 v[16:17], v[16:17], v[138:139]
	v_mul_f64 v[150:151], v[120:121], v[74:75]
	v_fmac_f64_e32 v[154:155], v[126:127], v[48:49]
	v_add_f64 v[120:121], v[16:17], v[140:141]
	v_add_f64 v[16:17], v[54:55], v[138:139]
	v_fmac_f64_e32 v[150:151], v[122:123], v[72:73]
	v_fma_f64 v[124:125], -0.5, v[16:17], v[92:93]
	v_add_f64 v[16:17], v[26:27], -v[154:155]
	v_fma_f64 v[128:129], s[16:17], v[16:17], v[124:125]
	v_add_f64 v[18:19], v[146:147], -v[150:151]
	v_add_f64 v[20:21], v[24:25], -v[54:55]
	;; [unrolled: 1-line block ×3, first 2 shown]
	v_fmac_f64_e32 v[124:125], s[20:21], v[16:17]
	v_fmac_f64_e32 v[128:129], s[0:1], v[18:19]
	v_add_f64 v[20:21], v[20:21], v[22:23]
	v_fmac_f64_e32 v[124:125], s[22:23], v[18:19]
	v_fmac_f64_e32 v[128:129], s[18:19], v[20:21]
	;; [unrolled: 1-line block ×3, first 2 shown]
	v_add_f64 v[20:21], v[24:25], v[140:141]
	v_fmac_f64_e32 v[92:93], -0.5, v[20:21]
	v_fma_f64 v[136:137], s[20:21], v[18:19], v[92:93]
	v_fmac_f64_e32 v[92:93], s[16:17], v[18:19]
	v_fmac_f64_e32 v[136:137], s[0:1], v[16:17]
	;; [unrolled: 1-line block ×3, first 2 shown]
	v_add_f64 v[16:17], v[94:95], v[26:27]
	v_add_f64 v[16:17], v[16:17], v[146:147]
	;; [unrolled: 1-line block ×3, first 2 shown]
	v_add_f64 v[20:21], v[54:55], -v[24:25]
	v_add_f64 v[22:23], v[138:139], -v[140:141]
	v_add_f64 v[122:123], v[16:17], v[154:155]
	v_add_f64 v[16:17], v[146:147], v[150:151]
	;; [unrolled: 1-line block ×3, first 2 shown]
	v_fma_f64 v[126:127], -0.5, v[16:17], v[94:95]
	v_add_f64 v[16:17], v[24:25], -v[140:141]
	v_fmac_f64_e32 v[136:137], s[18:19], v[20:21]
	v_fmac_f64_e32 v[92:93], s[18:19], v[20:21]
	v_fma_f64 v[130:131], s[20:21], v[16:17], v[126:127]
	v_add_f64 v[18:19], v[54:55], -v[138:139]
	v_add_f64 v[20:21], v[26:27], -v[146:147]
	;; [unrolled: 1-line block ×3, first 2 shown]
	v_fmac_f64_e32 v[126:127], s[16:17], v[16:17]
	v_fmac_f64_e32 v[130:131], s[22:23], v[18:19]
	v_add_f64 v[20:21], v[20:21], v[22:23]
	v_fmac_f64_e32 v[126:127], s[0:1], v[18:19]
	v_fmac_f64_e32 v[130:131], s[18:19], v[20:21]
	;; [unrolled: 1-line block ×3, first 2 shown]
	v_add_f64 v[20:21], v[26:27], v[154:155]
	v_fmac_f64_e32 v[94:95], -0.5, v[20:21]
	v_add_f64 v[20:21], v[146:147], -v[26:27]
	v_add_f64 v[22:23], v[150:151], -v[154:155]
	v_add_f64 v[20:21], v[20:21], v[22:23]
	v_add_f64 v[22:23], v[0:1], -v[2:3]
	v_add_f64 v[24:25], v[6:7], -v[4:5]
	v_add_f64 v[100:101], v[22:23], v[24:25]
	;; [unrolled: 3-line block ×3, first 2 shown]
	v_mul_u32_u24_e32 v24, 0xaa, v28
	v_fma_f64 v[138:139], s[16:17], v[18:19], v[94:95]
	v_fmac_f64_e32 v[94:95], s[20:21], v[18:19]
	v_add_u32_sdwa v24, v24, v29 dst_sel:DWORD dst_unused:UNUSED_PAD src0_sel:DWORD src1_sel:BYTE_0
	v_fmac_f64_e32 v[138:139], s[22:23], v[16:17]
	v_fmac_f64_e32 v[94:95], s[0:1], v[16:17]
	v_add_f64 v[16:17], v[2:3], v[4:5]
	v_add_f64 v[22:23], v[10:11], v[12:13]
	v_add_lshl_u32 v24, v144, v24, 4
	v_fma_f64 v[16:17], -0.5, v[16:17], v[88:89]
	v_add_f64 v[18:19], v[8:9], -v[14:15]
	v_fma_f64 v[22:23], -0.5, v[22:23], v[90:91]
	v_add_f64 v[84:85], v[0:1], -v[6:7]
	ds_write_b128 v24, v[112:115]
	ds_write_b128 v24, v[108:111] offset:544
	ds_write_b128 v24, v[116:119] offset:1088
	;; [unrolled: 1-line block ×3, first 2 shown]
	v_accvgpr_write_b32 a57, v24
	ds_write_b128 v24, v[104:107] offset:2176
	v_mul_u32_u24_e32 v24, 0xaa, v30
	v_fmac_f64_e32 v[138:139], s[18:19], v[20:21]
	v_fmac_f64_e32 v[94:95], s[18:19], v[20:21]
	v_add_f64 v[20:21], v[10:11], -v[12:13]
	v_fma_f64 v[132:133], s[20:21], v[18:19], v[16:17]
	v_add_f64 v[86:87], v[2:3], -v[4:5]
	v_fma_f64 v[134:135], s[16:17], v[84:85], v[22:23]
	v_add_u32_sdwa v24, v24, v31 dst_sel:DWORD dst_unused:UNUSED_PAD src0_sel:DWORD src1_sel:BYTE_0
	v_accvgpr_write_b32 a73, v47
	v_accvgpr_write_b32 a69, v43
	;; [unrolled: 1-line block ×5, first 2 shown]
	v_fmac_f64_e32 v[132:133], s[22:23], v[20:21]
	v_fmac_f64_e32 v[134:135], s[0:1], v[86:87]
	v_add_lshl_u32 v24, v144, v24, 4
	v_accvgpr_write_b32 a72, v46
	v_accvgpr_write_b32 a71, v45
	;; [unrolled: 1-line block ×15, first 2 shown]
	v_fmac_f64_e32 v[132:133], s[18:19], v[100:101]
	v_fmac_f64_e32 v[134:135], s[18:19], v[102:103]
	v_accvgpr_write_b32 a78, v24
	ds_write_b128 v24, v[120:123]
	ds_write_b128 v24, v[128:131] offset:544
	ds_write_b128 v24, v[136:139] offset:1088
	;; [unrolled: 1-line block ×4, first 2 shown]
	s_mov_b64 s[24:25], exec
	v_accvgpr_read_b32 v47, a9
	v_accvgpr_read_b32 v51, a13
	s_and_b64 s[26:27], s[24:25], s[2:3]
	v_accvgpr_read_b32 v46, a8
	v_accvgpr_read_b32 v45, a7
	;; [unrolled: 1-line block ×6, first 2 shown]
	s_mov_b64 exec, s[26:27]
	s_cbranch_execz .LBB0_11
; %bb.10:
	v_add_f64 v[92:93], v[10:11], -v[8:9]
	v_add_f64 v[96:97], v[12:13], -v[14:15]
	v_add_f64 v[104:105], v[92:93], v[96:97]
	v_add_f64 v[92:93], v[8:9], v[14:15]
	;; [unrolled: 1-line block ×5, first 2 shown]
	v_add_f64 v[10:11], v[2:3], -v[0:1]
	v_add_f64 v[12:13], v[4:5], -v[6:7]
	v_add_f64 v[10:11], v[10:11], v[12:13]
	v_add_f64 v[12:13], v[0:1], v[6:7]
	v_mul_f64 v[94:95], v[84:85], s[16:17]
	v_fma_f64 v[92:93], -0.5, v[92:93], v[90:91]
	v_fma_f64 v[90:91], -0.5, v[12:13], v[88:89]
	v_add_f64 v[0:1], v[88:89], v[0:1]
	v_fma_f64 v[96:97], s[20:21], v[86:87], v[92:93]
	v_add_f64 v[22:23], v[22:23], -v[94:95]
	v_fma_f64 v[94:95], s[16:17], v[20:21], v[90:91]
	v_fmac_f64_e32 v[90:91], s[20:21], v[20:21]
	v_add_f64 v[0:1], v[0:1], v[2:3]
	v_mul_f64 v[26:27], v[20:21], s[0:1]
	v_mul_f64 v[98:99], v[100:101], s[18:19]
	;; [unrolled: 1-line block ×3, first 2 shown]
	v_fmac_f64_e32 v[96:97], s[0:1], v[84:85]
	v_fmac_f64_e32 v[90:91], s[0:1], v[18:19]
	v_add_f64 v[0:1], v[0:1], v[4:5]
	s_movk_i32 s0, 0xf1
	v_add_f64 v[6:7], v[0:1], v[6:7]
	v_mul_lo_u16_sdwa v0, v53, s0 dst_sel:DWORD dst_unused:UNUSED_PAD src0_sel:BYTE_0 src1_sel:DWORD
	v_lshrrev_b16_e32 v0, 13, v0
	v_mul_f64 v[24:25], v[18:19], s[16:17]
	v_fmac_f64_e32 v[94:95], s[22:23], v[18:19]
	v_mul_u32_u24_e32 v0, 0xaa, v0
	v_fmac_f64_e32 v[92:93], s[16:17], v[86:87]
	v_fmac_f64_e32 v[94:95], s[18:19], v[10:11]
	;; [unrolled: 1-line block ×3, first 2 shown]
	v_add_f64 v[10:11], v[16:17], v[24:25]
	v_add_u32_sdwa v0, v0, v225 dst_sel:DWORD dst_unused:UNUSED_PAD src0_sel:DWORD src1_sel:BYTE_0
	v_mul_f64 v[102:103], v[102:103], s[18:19]
	v_fmac_f64_e32 v[92:93], s[22:23], v[84:85]
	v_add_f64 v[22:23], v[22:23], -v[100:101]
	v_add_f64 v[8:9], v[8:9], v[14:15]
	v_add_f64 v[10:11], v[26:27], v[10:11]
	v_add_lshl_u32 v0, v144, v0, 4
	v_fmac_f64_e32 v[96:97], s[18:19], v[104:105]
	v_fmac_f64_e32 v[92:93], s[18:19], v[104:105]
	v_add_f64 v[22:23], v[102:103], v[22:23]
	v_add_f64 v[20:21], v[98:99], v[10:11]
	ds_write_b128 v0, v[6:9]
	ds_write_b128 v0, v[20:23] offset:544
	ds_write_b128 v0, v[90:93] offset:1088
	;; [unrolled: 1-line block ×4, first 2 shown]
.LBB0_11:
	s_or_b64 exec, exec, s[24:25]
	s_movk_i32 s0, 0x60
	v_mov_b64_e32 v[0:1], s[6:7]
	v_accvgpr_read_b32 v28, a2
	v_mad_u64_u32 v[0:1], s[0:1], v28, s0, v[0:1]
	s_waitcnt lgkmcnt(0)
	s_barrier
	global_load_dwordx4 v[96:99], v[0:1], off offset:2448
	global_load_dwordx4 v[92:95], v[0:1], off offset:2464
	;; [unrolled: 1-line block ×6, first 2 shown]
	s_mov_b64 s[0:1], 0x1fe0
	v_lshl_add_u64 v[0:1], v[0:1], 0, s[0:1]
	global_load_dwordx4 v[120:123], v[0:1], off offset:2448
	global_load_dwordx4 v[116:119], v[0:1], off offset:2464
	;; [unrolled: 1-line block ×6, first 2 shown]
	ds_read_b128 v[0:3], v52
	ds_read_b128 v[164:167], v52 offset:1360
	ds_read_b128 v[4:7], v52 offset:2720
	;; [unrolled: 1-line block ×13, first 2 shown]
	s_mov_b32 s6, 0x37e14327
	s_mov_b32 s0, 0x36b3c0b5
	;; [unrolled: 1-line block ×20, first 2 shown]
	s_waitcnt vmcnt(11) lgkmcnt(11)
	v_mul_f64 v[24:25], v[6:7], v[98:99]
	v_mul_f64 v[26:27], v[4:5], v[98:99]
	s_waitcnt vmcnt(10) lgkmcnt(9)
	v_mul_f64 v[168:169], v[14:15], v[94:95]
	v_mul_f64 v[170:171], v[12:13], v[94:95]
	;; [unrolled: 3-line block ×4, first 2 shown]
	s_waitcnt vmcnt(7) lgkmcnt(3)
	v_mul_f64 v[180:181], v[150:151], v[106:107]
	s_waitcnt vmcnt(6) lgkmcnt(1)
	v_mul_f64 v[184:185], v[158:159], v[102:103]
	v_mul_f64 v[186:187], v[156:157], v[102:103]
	;; [unrolled: 1-line block ×3, first 2 shown]
	v_fma_f64 v[4:5], v[4:5], v[96:97], -v[24:25]
	v_fmac_f64_e32 v[26:27], v[6:7], v[96:97]
	v_fma_f64 v[6:7], v[12:13], v[92:93], -v[168:169]
	v_fmac_f64_e32 v[170:171], v[14:15], v[92:93]
	;; [unrolled: 2-line block ×4, first 2 shown]
	v_fma_f64 v[20:21], v[148:149], v[104:105], -v[180:181]
	v_fma_f64 v[22:23], v[156:157], v[100:101], -v[184:185]
	v_fmac_f64_e32 v[186:187], v[158:159], v[100:101]
	s_waitcnt vmcnt(5)
	v_mul_f64 v[168:169], v[8:9], v[122:123]
	s_waitcnt vmcnt(4)
	v_mul_f64 v[140:141], v[18:19], v[118:119]
	;; [unrolled: 2-line block ×3, first 2 shown]
	v_mul_f64 v[176:177], v[136:137], v[114:115]
	v_fmac_f64_e32 v[182:183], v[150:151], v[104:105]
	v_mul_f64 v[24:25], v[10:11], v[122:123]
	v_mul_f64 v[172:173], v[16:17], v[118:119]
	s_waitcnt vmcnt(2)
	v_mul_f64 v[180:181], v[144:145], v[110:111]
	v_fmac_f64_e32 v[168:169], v[10:11], v[120:121]
	v_fma_f64 v[10:11], v[16:17], v[116:117], -v[140:141]
	v_fma_f64 v[16:17], v[136:137], v[112:113], -v[142:143]
	v_fmac_f64_e32 v[176:177], v[138:139], v[112:113]
	v_add_f64 v[136:137], v[4:5], v[22:23]
	v_add_f64 v[138:139], v[26:27], v[186:187]
	v_add_f64 v[4:5], v[4:5], -v[22:23]
	v_add_f64 v[22:23], v[26:27], -v[186:187]
	v_add_f64 v[26:27], v[6:7], v[20:21]
	v_mul_f64 v[148:149], v[146:147], v[110:111]
	s_waitcnt vmcnt(1)
	v_mul_f64 v[150:151], v[154:155], v[130:131]
	v_mul_f64 v[184:185], v[152:153], v[130:131]
	s_waitcnt vmcnt(0) lgkmcnt(0)
	v_mul_f64 v[156:157], v[162:163], v[126:127]
	v_fmac_f64_e32 v[180:181], v[146:147], v[108:109]
	v_add_f64 v[140:141], v[170:171], v[182:183]
	v_add_f64 v[6:7], v[6:7], -v[20:21]
	v_add_f64 v[20:21], v[170:171], -v[182:183]
	v_add_f64 v[142:143], v[12:13], v[14:15]
	v_add_f64 v[12:13], v[14:15], -v[12:13]
	v_add_f64 v[14:15], v[178:179], -v[174:175]
	v_add_f64 v[146:147], v[26:27], v[136:137]
	v_mul_f64 v[188:189], v[160:161], v[126:127]
	v_fma_f64 v[8:9], v[8:9], v[120:121], -v[24:25]
	v_fmac_f64_e32 v[172:173], v[18:19], v[116:117]
	v_fma_f64 v[18:19], v[144:145], v[108:109], -v[148:149]
	v_fma_f64 v[24:25], v[152:153], v[128:129], -v[150:151]
	v_fmac_f64_e32 v[184:185], v[154:155], v[128:129]
	v_fma_f64 v[190:191], v[160:161], v[124:125], -v[156:157]
	v_add_f64 v[144:145], v[174:175], v[178:179]
	v_add_f64 v[148:149], v[140:141], v[138:139]
	v_add_f64 v[150:151], v[26:27], -v[136:137]
	v_add_f64 v[154:155], v[136:137], -v[142:143]
	;; [unrolled: 1-line block ×3, first 2 shown]
	v_add_f64 v[136:137], v[12:13], v[6:7]
	v_add_f64 v[160:161], v[14:15], -v[20:21]
	v_add_f64 v[142:143], v[142:143], v[146:147]
	v_add_f64 v[152:153], v[140:141], -v[138:139]
	v_add_f64 v[156:157], v[138:139], -v[144:145]
	;; [unrolled: 1-line block ×3, first 2 shown]
	v_add_f64 v[138:139], v[14:15], v[20:21]
	v_add_f64 v[158:159], v[12:13], -v[6:7]
	v_add_f64 v[12:13], v[4:5], -v[12:13]
	;; [unrolled: 1-line block ×5, first 2 shown]
	v_add_f64 v[144:145], v[144:145], v[148:149]
	v_add_f64 v[4:5], v[136:137], v[4:5]
	v_add_f64 v[136:137], v[0:1], v[142:143]
	v_mul_f64 v[0:1], v[154:155], s[6:7]
	v_mul_f64 v[146:147], v[26:27], s[0:1]
	;; [unrolled: 1-line block ×3, first 2 shown]
	v_fmac_f64_e32 v[188:189], v[162:163], v[124:125]
	v_add_f64 v[22:23], v[138:139], v[22:23]
	v_add_f64 v[138:139], v[2:3], v[144:145]
	v_mul_f64 v[2:3], v[156:157], s[6:7]
	v_mul_f64 v[148:149], v[140:141], s[0:1]
	;; [unrolled: 1-line block ×5, first 2 shown]
	v_fma_f64 v[142:143], s[20:21], v[142:143], v[136:137]
	v_fma_f64 v[146:147], v[150:151], s[22:23], -v[146:147]
	v_fma_f64 v[150:151], v[150:151], s[24:25], -v[0:1]
	v_fmac_f64_e32 v[0:1], s[0:1], v[26:27]
	v_fma_f64 v[20:21], v[20:21], s[16:17], -v[160:161]
	v_fmac_f64_e32 v[160:161], s[26:27], v[14:15]
	v_fma_f64 v[144:145], s[20:21], v[144:145], v[138:139]
	v_fma_f64 v[148:149], v[152:153], s[22:23], -v[148:149]
	v_fma_f64 v[26:27], v[152:153], s[24:25], -v[2:3]
	v_fmac_f64_e32 v[2:3], s[0:1], v[140:141]
	v_fma_f64 v[6:7], v[6:7], s[16:17], -v[162:163]
	v_fmac_f64_e32 v[162:163], s[26:27], v[12:13]
	v_fma_f64 v[12:13], v[12:13], s[30:31], -v[154:155]
	v_fma_f64 v[14:15], v[14:15], s[30:31], -v[156:157]
	v_add_f64 v[0:1], v[0:1], v[142:143]
	v_fmac_f64_e32 v[160:161], s[28:29], v[22:23]
	v_add_f64 v[2:3], v[2:3], v[144:145]
	v_add_f64 v[152:153], v[146:147], v[142:143]
	v_add_f64 v[154:155], v[148:149], v[144:145]
	v_add_f64 v[156:157], v[150:151], v[142:143]
	v_add_f64 v[26:27], v[26:27], v[144:145]
	v_fmac_f64_e32 v[162:163], s[28:29], v[4:5]
	v_fmac_f64_e32 v[6:7], s[28:29], v[4:5]
	v_fmac_f64_e32 v[20:21], s[28:29], v[22:23]
	v_fmac_f64_e32 v[12:13], s[28:29], v[4:5]
	v_fmac_f64_e32 v[14:15], s[28:29], v[22:23]
	v_add_f64 v[140:141], v[160:161], v[0:1]
	v_add_f64 v[160:161], v[0:1], -v[160:161]
	v_add_f64 v[0:1], v[8:9], v[190:191]
	v_add_f64 v[4:5], v[8:9], -v[190:191]
	;; [unrolled: 2-line block ×4, first 2 shown]
	v_add_f64 v[148:149], v[152:153], -v[20:21]
	v_add_f64 v[150:151], v[6:7], v[154:155]
	v_add_f64 v[152:153], v[20:21], v[152:153]
	v_add_f64 v[154:155], v[154:155], -v[6:7]
	v_add_f64 v[156:157], v[156:157], -v[14:15]
	v_add_f64 v[158:159], v[12:13], v[26:27]
	v_add_f64 v[162:163], v[162:163], v[2:3]
	;; [unrolled: 1-line block ×3, first 2 shown]
	v_add_f64 v[6:7], v[168:169], -v[188:189]
	v_add_f64 v[12:13], v[172:173], v[184:185]
	v_add_f64 v[10:11], v[10:11], -v[24:25]
	v_add_f64 v[14:15], v[172:173], -v[184:185]
	v_add_f64 v[20:21], v[16:17], v[18:19]
	v_add_f64 v[16:17], v[18:19], -v[16:17]
	v_add_f64 v[18:19], v[180:181], -v[176:177]
	v_add_f64 v[24:25], v[8:9], v[0:1]
	v_add_f64 v[22:23], v[176:177], v[180:181]
	;; [unrolled: 1-line block ×3, first 2 shown]
	v_add_f64 v[168:169], v[8:9], -v[0:1]
	v_add_f64 v[0:1], v[0:1], -v[20:21]
	;; [unrolled: 1-line block ×3, first 2 shown]
	v_add_f64 v[172:173], v[16:17], v[10:11]
	v_add_f64 v[174:175], v[18:19], v[14:15]
	v_add_f64 v[176:177], v[16:17], -v[10:11]
	v_add_f64 v[178:179], v[18:19], -v[14:15]
	;; [unrolled: 1-line block ×3, first 2 shown]
	v_add_f64 v[20:21], v[20:21], v[24:25]
	v_add_f64 v[170:171], v[12:13], -v[2:3]
	v_add_f64 v[2:3], v[2:3], -v[22:23]
	v_add_f64 v[12:13], v[22:23], -v[12:13]
	v_add_f64 v[16:17], v[4:5], -v[16:17]
	v_add_f64 v[18:19], v[6:7], -v[18:19]
	v_add_f64 v[10:11], v[10:11], -v[4:5]
	v_add_f64 v[22:23], v[22:23], v[26:27]
	v_add_f64 v[4:5], v[172:173], v[4:5]
	;; [unrolled: 1-line block ×3, first 2 shown]
	v_mul_f64 v[0:1], v[0:1], s[6:7]
	v_mul_f64 v[172:173], v[176:177], s[18:19]
	v_mul_f64 v[188:189], v[178:179], s[18:19]
	v_mul_f64 v[176:177], v[14:15], s[16:17]
	v_add_f64 v[6:7], v[174:175], v[6:7]
	v_add_f64 v[166:167], v[166:167], v[22:23]
	v_mul_f64 v[2:3], v[2:3], s[6:7]
	v_mul_f64 v[24:25], v[8:9], s[0:1]
	;; [unrolled: 1-line block ×4, first 2 shown]
	v_fma_f64 v[20:21], s[20:21], v[20:21], v[164:165]
	v_fma_f64 v[8:9], s[0:1], v[8:9], v[0:1]
	v_fma_f64 v[0:1], v[168:169], s[24:25], -v[0:1]
	v_fma_f64 v[14:15], v[14:15], s[16:17], -v[188:189]
	v_fmac_f64_e32 v[188:189], s[26:27], v[18:19]
	v_fma_f64 v[18:19], v[18:19], s[30:31], -v[176:177]
	v_fma_f64 v[22:23], s[20:21], v[22:23], v[166:167]
	v_fma_f64 v[24:25], v[168:169], s[22:23], -v[24:25]
	v_fma_f64 v[26:27], v[170:171], s[22:23], -v[26:27]
	;; [unrolled: 1-line block ×3, first 2 shown]
	v_fmac_f64_e32 v[2:3], s[0:1], v[12:13]
	v_fma_f64 v[12:13], s[26:27], v[16:17], v[172:173]
	v_fma_f64 v[10:11], v[10:11], s[16:17], -v[172:173]
	v_fma_f64 v[16:17], v[16:17], s[30:31], -v[174:175]
	v_add_f64 v[0:1], v[0:1], v[20:21]
	v_fmac_f64_e32 v[18:19], s[28:29], v[6:7]
	v_add_f64 v[8:9], v[8:9], v[20:21]
	v_add_f64 v[2:3], v[2:3], v[22:23]
	;; [unrolled: 1-line block ×5, first 2 shown]
	v_fmac_f64_e32 v[12:13], s[28:29], v[4:5]
	v_fmac_f64_e32 v[188:189], s[28:29], v[6:7]
	v_fmac_f64_e32 v[10:11], s[28:29], v[4:5]
	v_fmac_f64_e32 v[14:15], s[28:29], v[6:7]
	v_fmac_f64_e32 v[16:17], s[28:29], v[4:5]
	v_add_f64 v[172:173], v[18:19], v[0:1]
	v_add_f64 v[184:185], v[0:1], -v[18:19]
	v_accvgpr_read_b32 v0, a1
	v_add_f64 v[168:169], v[188:189], v[8:9]
	v_add_f64 v[170:171], v[2:3], -v[12:13]
	v_add_f64 v[174:175], v[20:21], -v[16:17]
	;; [unrolled: 1-line block ×3, first 2 shown]
	v_add_f64 v[178:179], v[10:11], v[26:27]
	v_add_f64 v[180:181], v[14:15], v[24:25]
	v_add_f64 v[182:183], v[26:27], -v[10:11]
	v_add_f64 v[186:187], v[16:17], v[20:21]
	v_add_f64 v[188:189], v[8:9], -v[188:189]
	v_add_f64 v[190:191], v[12:13], v[2:3]
	v_lshl_add_u32 v53, v28, 4, v0
	ds_write_b128 v53, v[136:139]
	ds_write_b128 v53, v[140:143] offset:2720
	ds_write_b128 v53, v[144:147] offset:5440
	;; [unrolled: 1-line block ×13, first 2 shown]
	s_waitcnt lgkmcnt(0)
	s_barrier
	s_and_saveexec_b64 s[0:1], s[4:5]
	s_cbranch_execz .LBB0_13
; %bb.12:
	v_accvgpr_read_b32 v0, a0
	v_mov_b32_e32 v1, 0
	v_lshl_add_u64 v[196:197], s[12:13], 0, v[0:1]
	v_add_co_u32_e32 v4, vcc, 0x4000, v196
	ds_read_b128 v[0:3], v53
	ds_read_b128 v[192:195], v53 offset:17920
	v_addc_co_u32_e32 v5, vcc, 0, v197, vcc
	global_load_dwordx4 v[4:7], v[4:5], off offset:2656
	s_mov_b64 s[6:7], 0x4a60
	v_lshl_add_u64 v[12:13], v[196:197], 0, s[6:7]
	s_movk_i32 s6, 0x5000
	s_waitcnt vmcnt(0) lgkmcnt(1)
	v_mul_f64 v[8:9], v[2:3], v[6:7]
	v_mul_f64 v[10:11], v[0:1], v[6:7]
	v_fma_f64 v[8:9], v[0:1], v[4:5], -v[8:9]
	v_fmac_f64_e32 v[10:11], v[2:3], v[4:5]
	global_load_dwordx4 v[4:7], v[12:13], off offset:1120
	ds_read_b128 v[0:3], v53 offset:1120
	ds_write_b128 v53, v[8:11]
	s_waitcnt vmcnt(0) lgkmcnt(1)
	v_mul_f64 v[8:9], v[2:3], v[6:7]
	v_mul_f64 v[10:11], v[0:1], v[6:7]
	v_fma_f64 v[8:9], v[0:1], v[4:5], -v[8:9]
	v_fmac_f64_e32 v[10:11], v[2:3], v[4:5]
	global_load_dwordx4 v[4:7], v[12:13], off offset:2240
	ds_read_b128 v[0:3], v53 offset:2240
	ds_write_b128 v53, v[8:11] offset:1120
	s_waitcnt vmcnt(0) lgkmcnt(1)
	v_mul_f64 v[8:9], v[2:3], v[6:7]
	v_mul_f64 v[10:11], v[0:1], v[6:7]
	v_fma_f64 v[8:9], v[0:1], v[4:5], -v[8:9]
	v_fmac_f64_e32 v[10:11], v[2:3], v[4:5]
	global_load_dwordx4 v[4:7], v[12:13], off offset:3360
	ds_read_b128 v[0:3], v53 offset:3360
	ds_write_b128 v53, v[8:11] offset:2240
	s_waitcnt vmcnt(0) lgkmcnt(1)
	v_mul_f64 v[8:9], v[2:3], v[6:7]
	v_mul_f64 v[10:11], v[0:1], v[6:7]
	v_fma_f64 v[8:9], v[0:1], v[4:5], -v[8:9]
	v_fmac_f64_e32 v[10:11], v[2:3], v[4:5]
	v_add_co_u32_e32 v4, vcc, s6, v196
	ds_read_b128 v[0:3], v53 offset:4480
	s_nop 0
	v_addc_co_u32_e32 v5, vcc, 0, v197, vcc
	global_load_dwordx4 v[4:7], v[4:5], off offset:3040
	s_movk_i32 s6, 0x6000
	v_add_co_u32_e32 v12, vcc, s6, v196
	ds_write_b128 v53, v[8:11] offset:3360
	s_nop 0
	v_addc_co_u32_e32 v13, vcc, 0, v197, vcc
	s_movk_i32 s6, 0x7000
	s_waitcnt vmcnt(0) lgkmcnt(1)
	v_mul_f64 v[8:9], v[2:3], v[6:7]
	v_mul_f64 v[10:11], v[0:1], v[6:7]
	v_fma_f64 v[8:9], v[0:1], v[4:5], -v[8:9]
	v_fmac_f64_e32 v[10:11], v[2:3], v[4:5]
	global_load_dwordx4 v[4:7], v[12:13], off offset:64
	ds_read_b128 v[0:3], v53 offset:5600
	ds_write_b128 v53, v[8:11] offset:4480
	s_waitcnt vmcnt(0) lgkmcnt(1)
	v_mul_f64 v[8:9], v[2:3], v[6:7]
	v_mul_f64 v[10:11], v[0:1], v[6:7]
	v_fma_f64 v[8:9], v[0:1], v[4:5], -v[8:9]
	v_fmac_f64_e32 v[10:11], v[2:3], v[4:5]
	global_load_dwordx4 v[4:7], v[12:13], off offset:1184
	ds_read_b128 v[0:3], v53 offset:6720
	ds_write_b128 v53, v[8:11] offset:5600
	;; [unrolled: 8-line block ×3, first 2 shown]
	s_waitcnt vmcnt(0) lgkmcnt(1)
	v_mul_f64 v[8:9], v[2:3], v[6:7]
	v_mul_f64 v[10:11], v[0:1], v[6:7]
	v_fma_f64 v[8:9], v[0:1], v[4:5], -v[8:9]
	v_fmac_f64_e32 v[10:11], v[2:3], v[4:5]
	global_load_dwordx4 v[4:7], v[12:13], off offset:3424
	ds_read_b128 v[0:3], v53 offset:8960
	v_add_co_u32_e32 v12, vcc, s6, v196
	ds_write_b128 v53, v[8:11] offset:7840
	s_nop 0
	v_addc_co_u32_e32 v13, vcc, 0, v197, vcc
	s_mov_b32 s6, 0x8000
	s_waitcnt vmcnt(0) lgkmcnt(1)
	v_mul_f64 v[8:9], v[2:3], v[6:7]
	v_mul_f64 v[10:11], v[0:1], v[6:7]
	v_fma_f64 v[8:9], v[0:1], v[4:5], -v[8:9]
	v_fmac_f64_e32 v[10:11], v[2:3], v[4:5]
	global_load_dwordx4 v[4:7], v[12:13], off offset:448
	ds_read_b128 v[0:3], v53 offset:10080
	ds_write_b128 v53, v[8:11] offset:8960
	s_waitcnt vmcnt(0) lgkmcnt(1)
	v_mul_f64 v[8:9], v[2:3], v[6:7]
	v_mul_f64 v[10:11], v[0:1], v[6:7]
	v_fma_f64 v[8:9], v[0:1], v[4:5], -v[8:9]
	v_fmac_f64_e32 v[10:11], v[2:3], v[4:5]
	global_load_dwordx4 v[4:7], v[12:13], off offset:1568
	ds_read_b128 v[0:3], v53 offset:11200
	ds_write_b128 v53, v[8:11] offset:10080
	;; [unrolled: 8-line block ×3, first 2 shown]
	s_waitcnt vmcnt(0) lgkmcnt(1)
	v_mul_f64 v[8:9], v[2:3], v[6:7]
	v_mul_f64 v[10:11], v[0:1], v[6:7]
	v_fma_f64 v[8:9], v[0:1], v[4:5], -v[8:9]
	v_fmac_f64_e32 v[10:11], v[2:3], v[4:5]
	global_load_dwordx4 v[4:7], v[12:13], off offset:3808
	ds_read_b128 v[0:3], v53 offset:13440
	v_add_co_u32_e32 v12, vcc, s6, v196
	ds_write_b128 v53, v[8:11] offset:12320
	s_nop 0
	v_addc_co_u32_e32 v13, vcc, 0, v197, vcc
	s_mov_b32 s6, 0x9000
	s_waitcnt vmcnt(0) lgkmcnt(1)
	v_mul_f64 v[8:9], v[2:3], v[6:7]
	v_mul_f64 v[10:11], v[0:1], v[6:7]
	v_fma_f64 v[8:9], v[0:1], v[4:5], -v[8:9]
	v_fmac_f64_e32 v[10:11], v[2:3], v[4:5]
	global_load_dwordx4 v[4:7], v[12:13], off offset:832
	ds_read_b128 v[0:3], v53 offset:14560
	ds_write_b128 v53, v[8:11] offset:13440
	s_waitcnt vmcnt(0) lgkmcnt(1)
	v_mul_f64 v[8:9], v[2:3], v[6:7]
	v_mul_f64 v[10:11], v[0:1], v[6:7]
	v_fma_f64 v[8:9], v[0:1], v[4:5], -v[8:9]
	v_fmac_f64_e32 v[10:11], v[2:3], v[4:5]
	global_load_dwordx4 v[4:7], v[12:13], off offset:1952
	ds_read_b128 v[0:3], v53 offset:15680
	ds_write_b128 v53, v[8:11] offset:14560
	;; [unrolled: 8-line block ×3, first 2 shown]
	s_waitcnt vmcnt(0) lgkmcnt(1)
	v_mul_f64 v[8:9], v[2:3], v[6:7]
	v_fma_f64 v[8:9], v[0:1], v[4:5], -v[8:9]
	v_mul_f64 v[10:11], v[0:1], v[6:7]
	v_add_co_u32_e32 v0, vcc, s6, v196
	v_fmac_f64_e32 v[10:11], v[2:3], v[4:5]
	s_nop 0
	v_addc_co_u32_e32 v1, vcc, 0, v197, vcc
	global_load_dwordx4 v[196:199], v[0:1], off offset:96
	ds_write_b128 v53, v[8:11] offset:16800
	s_waitcnt vmcnt(0)
	v_mul_f64 v[0:1], v[194:195], v[198:199]
	v_mul_f64 v[2:3], v[192:193], v[198:199]
	v_fma_f64 v[0:1], v[192:193], v[196:197], -v[0:1]
	v_fmac_f64_e32 v[2:3], v[194:195], v[196:197]
	ds_write_b128 v53, v[0:3] offset:17920
.LBB0_13:
	s_or_b64 exec, exec, s[0:1]
	s_waitcnt lgkmcnt(0)
	s_barrier
	s_and_saveexec_b64 s[0:1], s[4:5]
	s_cbranch_execz .LBB0_15
; %bb.14:
	ds_read_b128 v[136:139], v53
	ds_read_b128 v[140:143], v53 offset:1120
	ds_read_b128 v[144:147], v53 offset:2240
	;; [unrolled: 1-line block ×16, first 2 shown]
.LBB0_15:
	s_or_b64 exec, exec, s[0:1]
	s_mov_b32 s18, 0x7c9e640b
	s_waitcnt lgkmcnt(0)
	v_add_f64 v[198:199], v[142:143], -v[50:51]
	s_mov_b32 s0, 0x2b2883cd
	s_mov_b32 s19, 0xbfeca52d
	;; [unrolled: 1-line block ×3, first 2 shown]
	v_add_f64 v[250:251], v[140:141], v[48:49]
	v_add_f64 v[254:255], v[142:143], v[50:51]
	s_mov_b32 s1, 0x3fdc86fa
	v_mul_f64 v[60:61], v[198:199], s[18:19]
	v_add_f64 v[204:205], v[146:147], -v[46:47]
	s_mov_b32 s16, 0x6ed5f1bb
	s_mov_b32 s25, 0xbfe9895b
	v_add_f64 v[206:207], v[140:141], -v[48:49]
	v_mul_f64 v[70:71], v[254:255], s[0:1]
	v_fma_f64 v[0:1], v[250:251], s[0:1], -v[60:61]
	v_add_f64 v[252:253], v[144:145], v[44:45]
	v_add_f64 v[244:245], v[146:147], v[46:47]
	s_mov_b32 s17, 0xbfe348c8
	v_mul_f64 v[28:29], v[204:205], s[24:25]
	v_add_f64 v[0:1], v[136:137], v[0:1]
	v_fma_f64 v[2:3], s[18:19], v[206:207], v[70:71]
	v_add_f64 v[210:211], v[144:145], -v[44:45]
	v_mul_f64 v[30:31], v[244:245], s[16:17]
	v_fma_f64 v[4:5], v[252:253], s[16:17], -v[28:29]
	v_add_f64 v[208:209], v[150:151], -v[134:135]
	s_mov_b32 s20, 0x7faef3
	s_mov_b32 s31, 0x3fc7851a
	;; [unrolled: 1-line block ×3, first 2 shown]
	v_add_f64 v[2:3], v[138:139], v[2:3]
	v_add_f64 v[0:1], v[4:5], v[0:1]
	v_fma_f64 v[4:5], s[24:25], v[210:211], v[30:31]
	v_add_f64 v[196:197], v[148:149], v[132:133]
	v_add_f64 v[202:203], v[150:151], v[134:135]
	s_mov_b32 s21, 0xbfef7484
	v_mul_f64 v[32:33], v[208:209], s[30:31]
	s_mov_b32 s44, 0x923c349f
	v_add_f64 v[2:3], v[4:5], v[2:3]
	v_add_f64 v[14:15], v[148:149], -v[132:133]
	v_mul_f64 v[34:35], v[202:203], s[20:21]
	v_fma_f64 v[4:5], v[196:197], s[20:21], -v[32:33]
	v_add_f64 v[12:13], v[154:155], -v[190:191]
	s_mov_b32 s22, 0xc61f0d01
	s_mov_b32 s45, 0x3feec746
	v_add_f64 v[0:1], v[4:5], v[0:1]
	v_fma_f64 v[4:5], s[30:31], v[14:15], v[34:35]
	v_add_f64 v[200:201], v[152:153], v[188:189]
	v_add_f64 v[246:247], v[154:155], v[190:191]
	s_mov_b32 s23, 0xbfd183b1
	v_mul_f64 v[36:37], v[12:13], s[44:45]
	s_mov_b32 s48, 0x2a9d6da3
	v_add_f64 v[2:3], v[4:5], v[2:3]
	v_add_f64 v[22:23], v[152:153], -v[188:189]
	v_mul_f64 v[38:39], v[246:247], s[22:23]
	v_fma_f64 v[4:5], v[200:201], s[22:23], -v[36:37]
	v_add_f64 v[20:21], v[158:159], -v[186:187]
	s_mov_b32 s26, 0x75d4884
	s_mov_b32 s49, 0x3fe58eea
	v_add_f64 v[0:1], v[4:5], v[0:1]
	v_fma_f64 v[4:5], s[44:45], v[22:23], v[38:39]
	v_add_f64 v[248:249], v[156:157], v[184:185]
	v_add_f64 v[10:11], v[158:159], v[186:187]
	s_mov_b32 s27, 0x3fe7a5f6
	v_mul_f64 v[40:41], v[20:21], s[48:49]
	v_add_f64 v[4:5], v[4:5], v[2:3]
	v_add_f64 v[2:3], v[156:157], -v[184:185]
	v_mul_f64 v[42:43], v[10:11], s[26:27]
	v_fma_f64 v[6:7], v[248:249], s[26:27], -v[40:41]
	v_add_f64 v[6:7], v[6:7], v[0:1]
	v_fma_f64 v[0:1], s[48:49], v[2:3], v[42:43]
	v_add_f64 v[4:5], v[0:1], v[4:5]
	v_add_f64 v[0:1], v[162:163], -v[182:183]
	s_mov_b32 s28, 0x370991
	v_add_f64 v[8:9], v[160:161], v[180:181]
	v_add_f64 v[16:17], v[162:163], v[182:183]
	s_mov_b32 s29, 0x3fedd6d0
	v_mul_f64 v[54:55], v[0:1], s[36:37]
	v_add_f64 v[216:217], v[160:161], -v[180:181]
	v_mul_f64 v[56:57], v[16:17], s[28:29]
	v_fma_f64 v[18:19], v[8:9], s[28:29], -v[54:55]
	v_add_f64 v[24:25], v[18:19], v[6:7]
	v_fma_f64 v[6:7], s[36:37], v[216:217], v[56:57]
	s_mov_b32 s40, 0xeb564b22
	v_add_f64 v[4:5], v[6:7], v[4:5]
	v_add_f64 v[6:7], v[166:167], -v[178:179]
	s_mov_b32 s34, 0x3259b75e
	s_mov_b32 s41, 0xbfefdd0d
	v_add_f64 v[18:19], v[164:165], v[176:177]
	v_add_f64 v[212:213], v[166:167], v[178:179]
	s_mov_b32 s35, 0x3fb79ee6
	v_mul_f64 v[58:59], v[6:7], s[40:41]
	v_add_f64 v[220:221], v[164:165], -v[176:177]
	v_mul_f64 v[192:193], v[212:213], s[34:35]
	v_fma_f64 v[26:27], v[18:19], s[34:35], -v[58:59]
	s_mov_b32 s42, 0x4363dd80
	v_add_f64 v[24:25], v[26:27], v[24:25]
	v_fma_f64 v[26:27], s[40:41], v[220:221], v[192:193]
	v_add_f64 v[218:219], v[170:171], -v[174:175]
	s_mov_b32 s38, 0x910ea3b9
	s_mov_b32 s43, 0xbfe0d888
	v_accvgpr_write_b32 a54, v192
	v_add_f64 v[26:27], v[26:27], v[4:5]
	v_add_f64 v[214:215], v[168:169], v[172:173]
	;; [unrolled: 1-line block ×3, first 2 shown]
	s_mov_b32 s39, 0xbfeb34fa
	v_mul_f64 v[240:241], v[218:219], s[42:43]
	v_accvgpr_write_b32 a55, v193
	v_add_f64 v[222:223], v[168:169], -v[172:173]
	v_mul_f64 v[242:243], v[4:5], s[38:39]
	v_fma_f64 v[192:193], v[214:215], s[38:39], -v[240:241]
	v_add_f64 v[192:193], v[192:193], v[24:25]
	v_fma_f64 v[24:25], s[42:43], v[222:223], v[242:243]
	v_add_f64 v[194:195], v[24:25], v[26:27]
	s_barrier
	s_and_saveexec_b64 s[6:7], s[4:5]
	s_cbranch_execz .LBB0_17
; %bb.16:
	v_mul_f64 v[24:25], v[14:15], s[30:31]
	s_mov_b32 s31, 0xbfc7851a
	v_accvgpr_write_b32 a121, v37
	s_mov_b32 s53, 0x3fd71e95
	s_mov_b32 s52, s36
	v_accvgpr_write_b32 a115, v33
	v_accvgpr_write_b32 a120, v36
	v_mul_f64 v[36:37], v[206:207], s[30:31]
	v_accvgpr_write_b32 a129, v39
	v_accvgpr_write_b32 a123, v31
	;; [unrolled: 1-line block ×3, first 2 shown]
	v_mul_f64 v[32:33], v[210:211], s[52:53]
	v_accvgpr_write_b32 a127, v35
	v_accvgpr_write_b32 a128, v38
	v_fma_f64 v[38:39], s[20:21], v[254:255], v[36:37]
	v_accvgpr_write_b32 a14, v234
	v_accvgpr_write_b32 a113, v55
	;; [unrolled: 1-line block ×3, first 2 shown]
	v_mul_f64 v[30:31], v[14:15], s[42:43]
	v_accvgpr_write_b32 a126, v34
	v_fma_f64 v[34:35], s[28:29], v[244:245], v[32:33]
	v_add_f64 v[38:39], v[138:139], v[38:39]
	v_accvgpr_write_b32 a10, v230
	v_accvgpr_write_b32 a15, v235
	;; [unrolled: 1-line block ×5, first 2 shown]
	v_mul_f64 v[54:55], v[22:23], s[48:49]
	v_accvgpr_write_b32 a61, v29
	v_accvgpr_write_b32 a50, v238
	;; [unrolled: 1-line block ×3, first 2 shown]
	v_fma_f64 v[238:239], s[38:39], v[202:203], v[30:31]
	v_add_f64 v[34:35], v[34:35], v[38:39]
	v_accvgpr_write_b32 a95, v51
	v_mul_f64 v[236:237], v[198:199], s[30:31]
	v_accvgpr_write_b32 a135, v57
	v_accvgpr_write_b32 a6, v226
	s_mov_b32 s51, 0x3feca52d
	s_mov_b32 s50, s18
	v_accvgpr_write_b32 a11, v231
	v_accvgpr_write_b32 a12, v232
	;; [unrolled: 1-line block ×3, first 2 shown]
	v_mul_f64 v[232:233], v[2:3], s[24:25]
	v_accvgpr_write_b32 a60, v28
	v_fma_f64 v[28:29], s[26:27], v[246:247], v[54:55]
	v_add_f64 v[34:35], v[238:239], v[34:35]
	v_accvgpr_write_b32 a91, v47
	v_accvgpr_write_b32 a94, v50
	;; [unrolled: 1-line block ×4, first 2 shown]
	v_mul_f64 v[48:49], v[204:205], s[52:53]
	v_accvgpr_write_b32 a134, v56
	v_fma_f64 v[56:57], v[250:251], s[20:21], -v[236:237]
	s_mov_b32 s47, 0xbfeec746
	s_mov_b32 s46, s44
	v_accvgpr_write_b32 a7, v227
	v_accvgpr_write_b32 a8, v228
	;; [unrolled: 1-line block ×3, first 2 shown]
	v_mul_f64 v[228:229], v[216:217], s[50:51]
	v_fma_f64 v[234:235], s[16:17], v[10:11], v[232:233]
	v_add_f64 v[28:29], v[28:29], v[34:35]
	v_accvgpr_write_b32 a131, v41
	v_accvgpr_write_b32 a90, v46
	;; [unrolled: 1-line block ×4, first 2 shown]
	v_mul_f64 v[44:45], v[208:209], s[42:43]
	v_fma_f64 v[50:51], v[252:253], s[28:29], -v[48:49]
	v_add_f64 v[56:57], v[136:137], v[56:57]
	v_accvgpr_write_b32 a3, v224
	v_accvgpr_write_b32 a5, v225
	v_mul_f64 v[224:225], v[220:221], s[46:47]
	v_fma_f64 v[230:231], s[0:1], v[16:17], v[228:229]
	v_add_f64 v[28:29], v[234:235], v[28:29]
	v_accvgpr_write_b32 a130, v40
	v_mul_f64 v[40:41], v[12:13], s[48:49]
	v_accvgpr_write_b32 a133, v43
	v_fma_f64 v[46:47], v[196:197], s[38:39], -v[44:45]
	v_add_f64 v[50:51], v[50:51], v[56:57]
	v_accvgpr_write_b32 a59, v25
	s_mov_b32 s57, 0x3fefdd0d
	s_mov_b32 s56, s40
	v_fma_f64 v[226:227], s[22:23], v[212:213], v[224:225]
	v_add_f64 v[28:29], v[230:231], v[28:29]
	v_mul_f64 v[234:235], v[20:21], s[24:25]
	v_accvgpr_write_b32 a132, v42
	v_fma_f64 v[42:43], v[200:201], s[26:27], -v[40:41]
	v_add_f64 v[46:47], v[46:47], v[50:51]
	v_fma_f64 v[36:37], v[254:255], s[20:21], -v[36:37]
	v_accvgpr_write_b32 a58, v24
	v_mul_f64 v[24:25], v[222:223], s[56:57]
	v_add_f64 v[28:29], v[226:227], v[28:29]
	v_mul_f64 v[226:227], v[0:1], s[50:51]
	v_fma_f64 v[238:239], v[248:249], s[16:17], -v[234:235]
	v_add_f64 v[42:43], v[42:43], v[46:47]
	v_fma_f64 v[32:33], v[244:245], s[28:29], -v[32:33]
	v_add_f64 v[36:37], v[138:139], v[36:37]
	v_fma_f64 v[26:27], s[34:35], v[4:5], v[24:25]
	v_accvgpr_write_b32 a125, v59
	v_mul_f64 v[34:35], v[6:7], s[46:47]
	v_fma_f64 v[230:231], v[8:9], s[0:1], -v[226:227]
	v_add_f64 v[42:43], v[238:239], v[42:43]
	v_fma_f64 v[30:31], v[202:203], s[38:39], -v[30:31]
	v_add_f64 v[32:33], v[32:33], v[36:37]
	v_accvgpr_write_b32 a124, v58
	v_add_f64 v[58:59], v[26:27], v[28:29]
	v_mul_f64 v[26:27], v[218:219], s[56:57]
	v_fma_f64 v[38:39], v[18:19], s[22:23], -v[34:35]
	v_add_f64 v[42:43], v[230:231], v[42:43]
	v_fma_f64 v[46:47], v[246:247], s[26:27], -v[54:55]
	v_add_f64 v[30:31], v[30:31], v[32:33]
	;; [unrolled: 2-line block ×4, first 2 shown]
	v_add_f64 v[56:57], v[28:29], v[38:39]
	v_fma_f64 v[38:39], v[16:17], s[0:1], -v[228:229]
	v_add_f64 v[30:31], v[42:43], v[30:31]
	v_fma_f64 v[28:29], v[212:213], s[22:23], -v[224:225]
	;; [unrolled: 2-line block ×3, first 2 shown]
	v_add_f64 v[28:29], v[28:29], v[30:31]
	v_fmac_f64_e32 v[236:237], s[20:21], v[250:251]
	v_add_f64 v[28:29], v[24:25], v[28:29]
	v_fmac_f64_e32 v[48:49], s[28:29], v[252:253]
	;; [unrolled: 2-line block ×3, first 2 shown]
	v_add_f64 v[24:25], v[48:49], v[24:25]
	v_accvgpr_write_b32 a83, v59
	v_fmac_f64_e32 v[40:41], s[26:27], v[200:201]
	v_add_f64 v[24:25], v[44:45], v[24:25]
	v_mul_f64 v[54:55], v[206:207], s[42:43]
	v_accvgpr_write_b32 a82, v58
	v_accvgpr_write_b32 a81, v57
	;; [unrolled: 1-line block ×3, first 2 shown]
	v_fmac_f64_e32 v[234:235], s[16:17], v[248:249]
	v_add_f64 v[24:25], v[40:41], v[24:25]
	v_mul_f64 v[48:49], v[210:211], s[50:51]
	v_fma_f64 v[56:57], s[38:39], v[254:255], v[54:55]
	v_fmac_f64_e32 v[226:227], s[0:1], v[8:9]
	v_add_f64 v[24:25], v[234:235], v[24:25]
	s_mov_b32 s59, 0x3fe9895b
	s_mov_b32 s58, s24
	v_mul_f64 v[44:45], v[14:15], s[40:41]
	v_fma_f64 v[50:51], s[0:1], v[244:245], v[48:49]
	v_add_f64 v[56:57], v[138:139], v[56:57]
	v_mul_f64 v[234:235], v[198:199], s[42:43]
	v_fmac_f64_e32 v[34:35], s[22:23], v[18:19]
	v_add_f64 v[24:25], v[226:227], v[24:25]
	v_mul_f64 v[40:41], v[22:23], s[58:59]
	v_fma_f64 v[46:47], s[34:35], v[202:203], v[44:45]
	v_add_f64 v[50:51], v[50:51], v[56:57]
	v_mul_f64 v[230:231], v[204:205], s[50:51]
	v_fma_f64 v[236:237], v[250:251], s[38:39], -v[234:235]
	v_fmac_f64_e32 v[26:27], s[34:35], v[214:215]
	v_add_f64 v[24:25], v[34:35], v[24:25]
	v_mul_f64 v[36:37], v[2:3], s[36:37]
	v_fma_f64 v[42:43], s[16:17], v[246:247], v[40:41]
	v_add_f64 v[46:47], v[46:47], v[50:51]
	v_mul_f64 v[226:227], v[208:209], s[40:41]
	v_fma_f64 v[232:233], v[252:253], s[0:1], -v[230:231]
	v_add_f64 v[236:237], v[136:137], v[236:237]
	v_add_f64 v[26:27], v[26:27], v[24:25]
	v_accvgpr_write_b32 a87, v29
	v_mul_f64 v[32:33], v[216:217], s[30:31]
	v_fma_f64 v[38:39], s[28:29], v[10:11], v[36:37]
	v_add_f64 v[42:43], v[42:43], v[46:47]
	v_mul_f64 v[58:59], v[12:13], s[58:59]
	v_fma_f64 v[228:229], v[196:197], s[34:35], -v[226:227]
	v_add_f64 v[232:233], v[232:233], v[236:237]
	v_accvgpr_write_b32 a86, v28
	v_accvgpr_write_b32 a85, v27
	;; [unrolled: 1-line block ×3, first 2 shown]
	v_mul_f64 v[28:29], v[220:221], s[48:49]
	v_fma_f64 v[34:35], s[20:21], v[16:17], v[32:33]
	v_add_f64 v[38:39], v[38:39], v[42:43]
	v_mul_f64 v[50:51], v[20:21], s[36:37]
	v_fma_f64 v[224:225], v[200:201], s[16:17], -v[58:59]
	v_add_f64 v[228:229], v[228:229], v[232:233]
	v_mul_f64 v[24:25], v[222:223], s[46:47]
	v_fma_f64 v[30:31], s[26:27], v[212:213], v[28:29]
	v_add_f64 v[34:35], v[34:35], v[38:39]
	v_mul_f64 v[42:43], v[0:1], s[30:31]
	v_fma_f64 v[56:57], v[248:249], s[28:29], -v[50:51]
	v_add_f64 v[224:225], v[224:225], v[228:229]
	v_fma_f64 v[26:27], s[22:23], v[4:5], v[24:25]
	v_add_f64 v[30:31], v[30:31], v[34:35]
	v_mul_f64 v[34:35], v[6:7], s[48:49]
	v_fma_f64 v[46:47], v[8:9], s[20:21], -v[42:43]
	v_add_f64 v[56:57], v[56:57], v[224:225]
	v_add_f64 v[238:239], v[26:27], v[30:31]
	v_mul_f64 v[26:27], v[218:219], s[46:47]
	v_fma_f64 v[38:39], v[18:19], s[26:27], -v[34:35]
	v_add_f64 v[46:47], v[46:47], v[56:57]
	v_fma_f64 v[30:31], v[214:215], s[22:23], -v[26:27]
	v_add_f64 v[38:39], v[38:39], v[46:47]
	v_add_f64 v[236:237], v[30:31], v[38:39]
	v_fma_f64 v[38:39], v[202:203], s[34:35], -v[44:45]
	v_fma_f64 v[44:45], v[254:255], s[38:39], -v[54:55]
	v_fma_f64 v[30:31], v[16:17], s[20:21], -v[32:33]
	v_fma_f64 v[32:33], v[10:11], s[28:29], -v[36:37]
	v_fma_f64 v[36:37], v[246:247], s[16:17], -v[40:41]
	v_fma_f64 v[40:41], v[244:245], s[0:1], -v[48:49]
	v_add_f64 v[44:45], v[138:139], v[44:45]
	v_add_f64 v[40:41], v[40:41], v[44:45]
	;; [unrolled: 1-line block ×5, first 2 shown]
	v_fma_f64 v[28:29], v[212:213], s[26:27], -v[28:29]
	v_add_f64 v[30:31], v[30:31], v[32:33]
	v_fma_f64 v[24:25], v[4:5], s[22:23], -v[24:25]
	v_add_f64 v[28:29], v[28:29], v[30:31]
	v_fmac_f64_e32 v[234:235], s[38:39], v[250:251]
	v_add_f64 v[28:29], v[24:25], v[28:29]
	v_fmac_f64_e32 v[230:231], s[0:1], v[252:253]
	v_add_f64 v[24:25], v[136:137], v[234:235]
	v_fmac_f64_e32 v[226:227], s[34:35], v[196:197]
	v_add_f64 v[24:25], v[230:231], v[24:25]
	v_fmac_f64_e32 v[58:59], s[16:17], v[200:201]
	v_add_f64 v[24:25], v[226:227], v[24:25]
	v_mul_f64 v[54:55], v[206:207], s[24:25]
	v_fmac_f64_e32 v[50:51], s[28:29], v[248:249]
	v_add_f64 v[24:25], v[58:59], v[24:25]
	v_mul_f64 v[48:49], v[210:211], s[44:45]
	v_fma_f64 v[56:57], s[16:17], v[254:255], v[54:55]
	v_accvgpr_write_b32 a96, v236
	v_fmac_f64_e32 v[42:43], s[20:21], v[8:9]
	v_add_f64 v[24:25], v[50:51], v[24:25]
	v_mul_f64 v[44:45], v[14:15], s[36:37]
	v_fma_f64 v[50:51], s[22:23], v[244:245], v[48:49]
	v_add_f64 v[56:57], v[138:139], v[56:57]
	v_mul_f64 v[234:235], v[198:199], s[24:25]
	v_accvgpr_write_b32 a97, v237
	v_accvgpr_write_b32 a98, v238
	v_accvgpr_write_b32 a99, v239
	v_fmac_f64_e32 v[34:35], s[26:27], v[18:19]
	v_add_f64 v[24:25], v[42:43], v[24:25]
	v_mul_f64 v[40:41], v[22:23], s[42:43]
	v_fma_f64 v[46:47], s[28:29], v[202:203], v[44:45]
	v_add_f64 v[50:51], v[50:51], v[56:57]
	v_mul_f64 v[230:231], v[204:205], s[44:45]
	v_fma_f64 v[236:237], v[250:251], s[16:17], -v[234:235]
	v_fmac_f64_e32 v[26:27], s[22:23], v[214:215]
	v_add_f64 v[24:25], v[34:35], v[24:25]
	s_mov_b32 s55, 0xbfe58eea
	s_mov_b32 s54, s48
	v_mul_f64 v[36:37], v[2:3], s[56:57]
	v_fma_f64 v[42:43], s[38:39], v[246:247], v[40:41]
	v_add_f64 v[46:47], v[46:47], v[50:51]
	v_mul_f64 v[226:227], v[208:209], s[36:37]
	v_fma_f64 v[232:233], v[252:253], s[22:23], -v[230:231]
	v_add_f64 v[236:237], v[136:137], v[236:237]
	v_add_f64 v[26:27], v[26:27], v[24:25]
	v_accvgpr_write_b32 a103, v29
	v_mul_f64 v[32:33], v[216:217], s[54:55]
	v_fma_f64 v[38:39], s[34:35], v[10:11], v[36:37]
	v_add_f64 v[42:43], v[42:43], v[46:47]
	v_mul_f64 v[58:59], v[12:13], s[42:43]
	v_fma_f64 v[228:229], v[196:197], s[28:29], -v[226:227]
	v_add_f64 v[232:233], v[232:233], v[236:237]
	v_accvgpr_write_b32 a102, v28
	v_accvgpr_write_b32 a101, v27
	;; [unrolled: 1-line block ×3, first 2 shown]
	v_mul_f64 v[28:29], v[220:221], s[30:31]
	v_fma_f64 v[34:35], s[26:27], v[16:17], v[32:33]
	v_add_f64 v[38:39], v[38:39], v[42:43]
	v_mul_f64 v[50:51], v[20:21], s[56:57]
	v_fma_f64 v[224:225], v[200:201], s[38:39], -v[58:59]
	v_add_f64 v[228:229], v[228:229], v[232:233]
	v_mul_f64 v[24:25], v[222:223], s[50:51]
	v_fma_f64 v[30:31], s[20:21], v[212:213], v[28:29]
	v_add_f64 v[34:35], v[34:35], v[38:39]
	v_mul_f64 v[42:43], v[0:1], s[54:55]
	v_fma_f64 v[56:57], v[248:249], s[34:35], -v[50:51]
	v_add_f64 v[224:225], v[224:225], v[228:229]
	v_fma_f64 v[26:27], s[0:1], v[4:5], v[24:25]
	v_add_f64 v[30:31], v[30:31], v[34:35]
	v_mul_f64 v[34:35], v[6:7], s[30:31]
	v_fma_f64 v[46:47], v[8:9], s[26:27], -v[42:43]
	v_add_f64 v[56:57], v[56:57], v[224:225]
	v_add_f64 v[238:239], v[26:27], v[30:31]
	v_mul_f64 v[26:27], v[218:219], s[50:51]
	v_fma_f64 v[38:39], v[18:19], s[20:21], -v[34:35]
	v_add_f64 v[46:47], v[46:47], v[56:57]
	v_fma_f64 v[30:31], v[214:215], s[0:1], -v[26:27]
	v_add_f64 v[38:39], v[38:39], v[46:47]
	v_add_f64 v[236:237], v[30:31], v[38:39]
	v_fma_f64 v[38:39], v[202:203], s[28:29], -v[44:45]
	v_fma_f64 v[44:45], v[254:255], s[16:17], -v[54:55]
	;; [unrolled: 1-line block ×6, first 2 shown]
	v_add_f64 v[44:45], v[138:139], v[44:45]
	v_add_f64 v[40:41], v[40:41], v[44:45]
	;; [unrolled: 1-line block ×5, first 2 shown]
	v_fma_f64 v[28:29], v[212:213], s[20:21], -v[28:29]
	v_add_f64 v[30:31], v[30:31], v[32:33]
	v_fma_f64 v[24:25], v[4:5], s[0:1], -v[24:25]
	v_add_f64 v[28:29], v[28:29], v[30:31]
	v_fmac_f64_e32 v[234:235], s[16:17], v[250:251]
	v_add_f64 v[28:29], v[24:25], v[28:29]
	v_fmac_f64_e32 v[230:231], s[22:23], v[252:253]
	;; [unrolled: 2-line block ×4, first 2 shown]
	v_add_f64 v[24:25], v[226:227], v[24:25]
	s_mov_b32 s61, 0x3fe0d888
	s_mov_b32 s60, s42
	v_mul_f64 v[54:55], v[206:207], s[46:47]
	v_fmac_f64_e32 v[50:51], s[34:35], v[248:249]
	v_add_f64 v[24:25], v[58:59], v[24:25]
	v_mul_f64 v[48:49], v[210:211], s[60:61]
	v_fma_f64 v[56:57], s[22:23], v[254:255], v[54:55]
	v_fmac_f64_e32 v[42:43], s[26:27], v[8:9]
	v_add_f64 v[24:25], v[50:51], v[24:25]
	v_mul_f64 v[44:45], v[14:15], s[48:49]
	v_fma_f64 v[50:51], s[38:39], v[244:245], v[48:49]
	v_add_f64 v[56:57], v[138:139], v[56:57]
	v_mul_f64 v[230:231], v[198:199], s[46:47]
	v_fmac_f64_e32 v[34:35], s[20:21], v[18:19]
	v_add_f64 v[24:25], v[42:43], v[24:25]
	v_mul_f64 v[40:41], v[22:23], s[18:19]
	v_fma_f64 v[46:47], s[26:27], v[202:203], v[44:45]
	v_add_f64 v[50:51], v[50:51], v[56:57]
	v_mul_f64 v[228:229], v[204:205], s[60:61]
	v_fma_f64 v[232:233], v[250:251], s[22:23], -v[230:231]
	v_fmac_f64_e32 v[26:27], s[0:1], v[214:215]
	v_add_f64 v[24:25], v[34:35], v[24:25]
	v_mul_f64 v[36:37], v[2:3], s[30:31]
	v_fma_f64 v[42:43], s[0:1], v[246:247], v[40:41]
	v_add_f64 v[46:47], v[46:47], v[50:51]
	v_mul_f64 v[224:225], v[208:209], s[48:49]
	v_fma_f64 v[226:227], v[252:253], s[38:39], -v[228:229]
	v_add_f64 v[232:233], v[136:137], v[232:233]
	v_add_f64 v[26:27], v[26:27], v[24:25]
	v_accvgpr_write_b32 a111, v29
	v_mul_f64 v[32:33], v[216:217], s[56:57]
	v_fma_f64 v[38:39], s[20:21], v[10:11], v[36:37]
	v_add_f64 v[42:43], v[42:43], v[46:47]
	v_mul_f64 v[58:59], v[12:13], s[18:19]
	v_add_f64 v[226:227], v[226:227], v[232:233]
	v_fma_f64 v[232:233], v[196:197], s[26:27], -v[224:225]
	v_accvgpr_write_b32 a110, v28
	v_accvgpr_write_b32 a109, v27
	;; [unrolled: 1-line block ×3, first 2 shown]
	v_mul_f64 v[28:29], v[220:221], s[36:37]
	v_fma_f64 v[34:35], s[34:35], v[16:17], v[32:33]
	v_add_f64 v[38:39], v[38:39], v[42:43]
	v_mul_f64 v[50:51], v[20:21], s[30:31]
	v_add_f64 v[226:227], v[232:233], v[226:227]
	v_fma_f64 v[232:233], v[200:201], s[0:1], -v[58:59]
	v_mul_f64 v[24:25], v[222:223], s[24:25]
	v_fma_f64 v[30:31], s[28:29], v[212:213], v[28:29]
	v_add_f64 v[34:35], v[34:35], v[38:39]
	v_mul_f64 v[42:43], v[0:1], s[56:57]
	v_fma_f64 v[56:57], v[248:249], s[20:21], -v[50:51]
	v_add_f64 v[226:227], v[232:233], v[226:227]
	v_fma_f64 v[26:27], s[16:17], v[4:5], v[24:25]
	v_add_f64 v[30:31], v[30:31], v[34:35]
	v_mul_f64 v[34:35], v[6:7], s[36:37]
	v_fma_f64 v[46:47], v[8:9], s[34:35], -v[42:43]
	v_add_f64 v[56:57], v[56:57], v[226:227]
	v_add_f64 v[234:235], v[26:27], v[30:31]
	v_mul_f64 v[26:27], v[218:219], s[24:25]
	v_fma_f64 v[38:39], v[18:19], s[28:29], -v[34:35]
	v_add_f64 v[46:47], v[46:47], v[56:57]
	v_fma_f64 v[30:31], v[214:215], s[16:17], -v[26:27]
	v_add_f64 v[38:39], v[38:39], v[46:47]
	v_add_f64 v[232:233], v[30:31], v[38:39]
	v_fma_f64 v[38:39], v[202:203], s[26:27], -v[44:45]
	v_fma_f64 v[44:45], v[254:255], s[22:23], -v[54:55]
	;; [unrolled: 1-line block ×6, first 2 shown]
	v_add_f64 v[44:45], v[138:139], v[44:45]
	v_add_f64 v[40:41], v[40:41], v[44:45]
	;; [unrolled: 1-line block ×5, first 2 shown]
	v_fma_f64 v[28:29], v[212:213], s[28:29], -v[28:29]
	v_add_f64 v[30:31], v[30:31], v[32:33]
	v_fma_f64 v[24:25], v[4:5], s[16:17], -v[24:25]
	v_add_f64 v[28:29], v[28:29], v[30:31]
	v_fmac_f64_e32 v[230:231], s[22:23], v[250:251]
	v_add_f64 v[226:227], v[24:25], v[28:29]
	v_fmac_f64_e32 v[228:229], s[38:39], v[252:253]
	;; [unrolled: 2-line block ×4, first 2 shown]
	v_add_f64 v[24:25], v[224:225], v[24:25]
	v_mul_f64 v[54:55], v[206:207], s[40:41]
	v_fmac_f64_e32 v[50:51], s[20:21], v[248:249]
	v_add_f64 v[24:25], v[58:59], v[24:25]
	v_mul_f64 v[48:49], v[210:211], s[30:31]
	v_fma_f64 v[56:57], s[34:35], v[254:255], v[54:55]
	v_add_f64 v[24:25], v[50:51], v[24:25]
	v_mul_f64 v[44:45], v[14:15], s[44:45]
	v_fma_f64 v[50:51], s[20:21], v[244:245], v[48:49]
	v_add_f64 v[56:57], v[138:139], v[56:57]
	v_fmac_f64_e32 v[42:43], s[34:35], v[8:9]
	v_mul_f64 v[40:41], v[22:23], s[52:53]
	v_fma_f64 v[46:47], s[22:23], v[202:203], v[44:45]
	v_add_f64 v[50:51], v[50:51], v[56:57]
	v_mul_f64 v[58:59], v[198:199], s[40:41]
	v_add_f64 v[24:25], v[42:43], v[24:25]
	v_mul_f64 v[36:37], v[2:3], s[18:19]
	v_fma_f64 v[42:43], s[28:29], v[246:247], v[40:41]
	v_add_f64 v[46:47], v[46:47], v[50:51]
	v_mul_f64 v[50:51], v[204:205], s[30:31]
	v_fma_f64 v[228:229], v[250:251], s[34:35], -v[58:59]
	v_fmac_f64_e32 v[58:59], s[34:35], v[250:251]
	v_fmac_f64_e32 v[34:35], s[28:29], v[18:19]
	v_mul_f64 v[32:33], v[216:217], s[42:43]
	v_fma_f64 v[38:39], s[0:1], v[10:11], v[36:37]
	v_add_f64 v[42:43], v[42:43], v[46:47]
	v_mul_f64 v[46:47], v[208:209], s[44:45]
	v_fma_f64 v[56:57], v[252:253], s[20:21], -v[50:51]
	v_add_f64 v[228:229], v[136:137], v[228:229]
	v_fmac_f64_e32 v[50:51], s[20:21], v[252:253]
	v_add_f64 v[58:59], v[136:137], v[58:59]
	v_fmac_f64_e32 v[26:27], s[16:17], v[214:215]
	v_add_f64 v[24:25], v[34:35], v[24:25]
	v_mul_f64 v[28:29], v[220:221], s[58:59]
	v_fma_f64 v[34:35], s[38:39], v[16:17], v[32:33]
	v_add_f64 v[38:39], v[38:39], v[42:43]
	v_mul_f64 v[42:43], v[12:13], s[52:53]
	v_add_f64 v[56:57], v[56:57], v[228:229]
	v_fma_f64 v[228:229], v[196:197], s[22:23], -v[46:47]
	v_fma_f64 v[54:55], v[254:255], s[34:35], -v[54:55]
	v_add_f64 v[50:51], v[50:51], v[58:59]
	v_fmac_f64_e32 v[46:47], s[22:23], v[196:197]
	v_add_f64 v[224:225], v[26:27], v[24:25]
	v_mul_f64 v[24:25], v[222:223], s[48:49]
	v_fma_f64 v[30:31], s[16:17], v[212:213], v[28:29]
	v_add_f64 v[34:35], v[34:35], v[38:39]
	v_mul_f64 v[38:39], v[20:21], s[18:19]
	v_add_f64 v[56:57], v[228:229], v[56:57]
	v_fma_f64 v[228:229], v[200:201], s[28:29], -v[42:43]
	v_fma_f64 v[48:49], v[244:245], s[20:21], -v[48:49]
	v_add_f64 v[54:55], v[138:139], v[54:55]
	v_add_f64 v[46:47], v[46:47], v[50:51]
	v_fmac_f64_e32 v[42:43], s[28:29], v[200:201]
	v_fma_f64 v[26:27], s[26:27], v[4:5], v[24:25]
	v_add_f64 v[30:31], v[30:31], v[34:35]
	v_mul_f64 v[34:35], v[0:1], s[42:43]
	v_add_f64 v[56:57], v[228:229], v[56:57]
	v_fma_f64 v[228:229], v[248:249], s[0:1], -v[38:39]
	v_add_f64 v[48:49], v[48:49], v[54:55]
	v_fma_f64 v[44:45], v[202:203], s[22:23], -v[44:45]
	v_add_f64 v[42:43], v[42:43], v[46:47]
	v_fmac_f64_e32 v[38:39], s[0:1], v[248:249]
	v_add_f64 v[230:231], v[26:27], v[30:31]
	v_mul_f64 v[30:31], v[6:7], s[58:59]
	v_add_f64 v[56:57], v[228:229], v[56:57]
	v_fma_f64 v[228:229], v[8:9], s[38:39], -v[34:35]
	v_add_f64 v[44:45], v[44:45], v[48:49]
	v_fma_f64 v[40:41], v[246:247], s[28:29], -v[40:41]
	v_add_f64 v[38:39], v[38:39], v[42:43]
	v_fmac_f64_e32 v[34:35], s[38:39], v[8:9]
	v_mul_f64 v[26:27], v[218:219], s[48:49]
	v_add_f64 v[56:57], v[228:229], v[56:57]
	v_fma_f64 v[228:229], v[18:19], s[16:17], -v[30:31]
	v_add_f64 v[40:41], v[40:41], v[44:45]
	v_fma_f64 v[36:37], v[10:11], s[0:1], -v[36:37]
	v_add_f64 v[34:35], v[34:35], v[38:39]
	v_fmac_f64_e32 v[30:31], s[16:17], v[18:19]
	v_accvgpr_write_b32 a116, v232
	v_add_f64 v[56:57], v[228:229], v[56:57]
	v_fma_f64 v[228:229], v[214:215], s[26:27], -v[26:27]
	v_add_f64 v[36:37], v[36:37], v[40:41]
	v_fma_f64 v[32:33], v[16:17], s[38:39], -v[32:33]
	v_add_f64 v[30:31], v[30:31], v[34:35]
	v_fmac_f64_e32 v[26:27], s[26:27], v[214:215]
	v_accvgpr_write_b32 a117, v233
	v_accvgpr_write_b32 a118, v234
	v_accvgpr_write_b32 a119, v235
	v_add_f64 v[32:33], v[32:33], v[36:37]
	v_fma_f64 v[28:29], v[212:213], s[16:17], -v[28:29]
	v_add_f64 v[232:233], v[26:27], v[30:31]
	v_accvgpr_read_b32 v26, a54
	v_add_f64 v[28:29], v[28:29], v[32:33]
	v_mul_f64 v[38:39], v[220:221], s[40:41]
	v_fma_f64 v[24:25], v[4:5], s[26:27], -v[24:25]
	v_accvgpr_read_b32 v27, a55
	v_add_f64 v[234:235], v[24:25], v[28:29]
	v_add_f64 v[26:27], v[26:27], -v[38:39]
	v_accvgpr_read_b32 v28, a134
	v_accvgpr_read_b32 v38, a128
	v_mul_f64 v[36:37], v[22:23], s[44:45]
	v_mul_f64 v[46:47], v[216:217], s[36:37]
	v_accvgpr_read_b32 v29, a135
	v_accvgpr_read_b32 v39, a129
	v_add_f64 v[28:29], v[28:29], -v[46:47]
	v_add_f64 v[36:37], v[38:39], -v[36:37]
	v_accvgpr_read_b32 v38, a58
	v_accvgpr_read_b32 v46, a126
	;; [unrolled: 1-line block ×4, first 2 shown]
	v_accvgpr_write_b32 a104, v236
	v_add_f64 v[38:39], v[46:47], -v[38:39]
	v_accvgpr_read_b32 v46, a122
	v_accvgpr_write_b32 a105, v237
	v_accvgpr_write_b32 a106, v238
	;; [unrolled: 1-line block ×3, first 2 shown]
	v_mul_f64 v[236:237], v[206:207], s[18:19]
	v_mul_f64 v[48:49], v[210:211], s[24:25]
	v_accvgpr_read_b32 v47, a123
	v_add_f64 v[46:47], v[46:47], -v[48:49]
	v_add_f64 v[48:49], v[70:71], -v[236:237]
	v_add_f64 v[48:49], v[138:139], v[48:49]
	v_accvgpr_read_b32 v30, a132
	v_add_f64 v[46:47], v[46:47], v[48:49]
	v_mul_f64 v[58:59], v[2:3], s[48:49]
	v_accvgpr_read_b32 v31, a133
	v_add_f64 v[38:39], v[38:39], v[46:47]
	v_add_f64 v[30:31], v[30:31], -v[58:59]
	v_add_f64 v[36:37], v[36:37], v[38:39]
	v_add_f64 v[30:31], v[30:31], v[36:37]
	v_mul_f64 v[24:25], v[222:223], s[42:43]
	v_add_f64 v[28:29], v[28:29], v[30:31]
	v_add_f64 v[228:229], v[228:229], v[56:57]
	v_mul_f64 v[56:57], v[250:251], s[0:1]
	v_mul_f64 v[34:35], v[214:215], s[38:39]
	v_add_f64 v[24:25], v[242:243], -v[24:25]
	v_add_f64 v[26:27], v[26:27], v[28:29]
	v_accvgpr_read_b32 v30, a130
	v_accvgpr_read_b32 v36, a60
	v_mul_f64 v[54:55], v[252:253], s[16:17]
	v_mul_f64 v[32:33], v[248:249], s[26:27]
	v_add_f64 v[242:243], v[24:25], v[26:27]
	v_add_f64 v[24:25], v[34:35], v[240:241]
	v_accvgpr_read_b32 v31, a131
	v_accvgpr_read_b32 v34, a114
	;; [unrolled: 1-line block ×3, first 2 shown]
	v_add_f64 v[38:39], v[56:57], v[60:61]
	v_mul_f64 v[44:45], v[196:197], s[20:21]
	v_accvgpr_read_b32 v28, a112
	v_add_f64 v[30:31], v[32:33], v[30:31]
	v_accvgpr_read_b32 v32, a120
	v_accvgpr_read_b32 v35, a115
	v_add_f64 v[36:37], v[54:55], v[36:37]
	v_add_f64 v[38:39], v[136:137], v[38:39]
	v_mul_f64 v[54:55], v[206:207], s[54:55]
	v_mul_f64 v[40:41], v[200:201], s[22:23]
	;; [unrolled: 1-line block ×3, first 2 shown]
	v_accvgpr_read_b32 v29, a113
	v_accvgpr_read_b32 v33, a121
	v_add_f64 v[34:35], v[44:45], v[34:35]
	v_add_f64 v[36:37], v[36:37], v[38:39]
	v_mul_f64 v[48:49], v[210:211], s[40:41]
	v_fma_f64 v[56:57], s[26:27], v[254:255], v[54:55]
	v_accvgpr_write_b32 a58, v66
	v_accvgpr_read_b32 v26, a124
	v_add_f64 v[28:29], v[50:51], v[28:29]
	v_add_f64 v[32:33], v[40:41], v[32:33]
	;; [unrolled: 1-line block ×3, first 2 shown]
	v_mul_f64 v[44:45], v[14:15], s[24:25]
	v_fma_f64 v[50:51], s[34:35], v[244:245], v[48:49]
	v_add_f64 v[56:57], v[138:139], v[56:57]
	v_accvgpr_write_b32 a59, v67
	v_accvgpr_write_b32 a60, v68
	;; [unrolled: 1-line block ×3, first 2 shown]
	v_mul_f64 v[68:69], v[198:199], s[54:55]
	v_mul_f64 v[42:43], v[18:19], s[34:35]
	v_accvgpr_read_b32 v27, a125
	v_add_f64 v[32:33], v[32:33], v[34:35]
	v_mul_f64 v[40:41], v[22:23], s[30:31]
	v_fma_f64 v[46:47], s[16:17], v[202:203], v[44:45]
	v_add_f64 v[50:51], v[50:51], v[56:57]
	v_accvgpr_write_b32 a56, v64
	v_mul_f64 v[64:65], v[204:205], s[40:41]
	v_fma_f64 v[70:71], v[250:251], s[26:27], -v[68:69]
	v_add_f64 v[26:27], v[42:43], v[26:27]
	v_add_f64 v[30:31], v[30:31], v[32:33]
	v_mul_f64 v[36:37], v[2:3], s[60:61]
	v_fma_f64 v[42:43], s[20:21], v[246:247], v[40:41]
	v_add_f64 v[46:47], v[46:47], v[50:51]
	v_mul_f64 v[60:61], v[208:209], s[24:25]
	v_fma_f64 v[66:67], v[252:253], s[34:35], -v[64:65]
	v_add_f64 v[70:71], v[136:137], v[70:71]
	v_add_f64 v[28:29], v[28:29], v[30:31]
	v_mul_f64 v[32:33], v[216:217], s[44:45]
	v_fma_f64 v[38:39], s[38:39], v[10:11], v[36:37]
	v_add_f64 v[42:43], v[42:43], v[46:47]
	v_mul_f64 v[58:59], v[12:13], s[30:31]
	v_accvgpr_write_b32 a54, v62
	v_accvgpr_write_b32 a55, v63
	v_fma_f64 v[62:63], v[196:197], s[16:17], -v[60:61]
	v_add_f64 v[66:67], v[66:67], v[70:71]
	v_add_f64 v[26:27], v[26:27], v[28:29]
	v_mul_f64 v[28:29], v[220:221], s[50:51]
	v_fma_f64 v[34:35], s[22:23], v[16:17], v[32:33]
	v_add_f64 v[38:39], v[38:39], v[42:43]
	v_mul_f64 v[50:51], v[20:21], s[60:61]
	v_fma_f64 v[236:237], v[200:201], s[20:21], -v[58:59]
	v_add_f64 v[62:63], v[62:63], v[66:67]
	v_add_f64 v[240:241], v[24:25], v[26:27]
	v_mul_f64 v[24:25], v[222:223], s[52:53]
	v_fma_f64 v[30:31], s[0:1], v[212:213], v[28:29]
	v_add_f64 v[34:35], v[34:35], v[38:39]
	v_mul_f64 v[42:43], v[0:1], s[44:45]
	v_fma_f64 v[56:57], v[248:249], s[38:39], -v[50:51]
	v_add_f64 v[62:63], v[236:237], v[62:63]
	v_fma_f64 v[26:27], s[28:29], v[4:5], v[24:25]
	v_add_f64 v[30:31], v[30:31], v[34:35]
	v_mul_f64 v[34:35], v[6:7], s[50:51]
	v_fma_f64 v[46:47], v[8:9], s[22:23], -v[42:43]
	v_add_f64 v[56:57], v[56:57], v[62:63]
	v_add_f64 v[238:239], v[26:27], v[30:31]
	v_mul_f64 v[30:31], v[218:219], s[52:53]
	v_fma_f64 v[38:39], v[18:19], s[0:1], -v[34:35]
	v_add_f64 v[46:47], v[46:47], v[56:57]
	v_fma_f64 v[26:27], v[214:215], s[28:29], -v[30:31]
	v_add_f64 v[38:39], v[38:39], v[46:47]
	v_add_f64 v[236:237], v[26:27], v[38:39]
	v_fma_f64 v[38:39], v[202:203], s[16:17], -v[44:45]
	v_fma_f64 v[44:45], v[254:255], s[26:27], -v[54:55]
	;; [unrolled: 1-line block ×7, first 2 shown]
	v_add_f64 v[44:45], v[138:139], v[44:45]
	v_add_f64 v[40:41], v[40:41], v[44:45]
	;; [unrolled: 1-line block ×6, first 2 shown]
	v_fma_f64 v[24:25], v[4:5], s[28:29], -v[24:25]
	v_add_f64 v[26:27], v[26:27], v[28:29]
	v_fmac_f64_e32 v[68:69], s[26:27], v[250:251]
	v_add_f64 v[26:27], v[24:25], v[26:27]
	v_fmac_f64_e32 v[64:65], s[34:35], v[252:253]
	;; [unrolled: 2-line block ×5, first 2 shown]
	v_add_f64 v[24:25], v[58:59], v[24:25]
	v_add_f64 v[24:25], v[50:51], v[24:25]
	v_mul_f64 v[50:51], v[206:207], s[36:37]
	v_mul_f64 v[46:47], v[210:211], s[54:55]
	v_fma_f64 v[54:55], s[28:29], v[254:255], v[50:51]
	v_mul_f64 v[62:63], v[198:199], s[36:37]
	v_mul_f64 v[14:15], v[14:15], s[18:19]
	v_fma_f64 v[48:49], s[26:27], v[244:245], v[46:47]
	v_add_f64 v[54:55], v[138:139], v[54:55]
	v_mul_f64 v[58:59], v[204:205], s[54:55]
	v_fma_f64 v[64:65], v[250:251], s[28:29], -v[62:63]
	v_fmac_f64_e32 v[42:43], s[22:23], v[8:9]
	v_mul_f64 v[22:23], v[22:23], s[40:41]
	v_fma_f64 v[44:45], s[0:1], v[202:203], v[14:15]
	v_add_f64 v[48:49], v[48:49], v[54:55]
	v_mul_f64 v[54:55], v[208:209], s[18:19]
	v_fma_f64 v[60:61], v[252:253], s[26:27], -v[58:59]
	v_add_f64 v[64:65], v[136:137], v[64:65]
	v_add_f64 v[24:25], v[42:43], v[24:25]
	v_mul_f64 v[40:41], v[2:3], s[46:47]
	v_fma_f64 v[42:43], s[34:35], v[246:247], v[22:23]
	v_add_f64 v[44:45], v[44:45], v[48:49]
	v_mul_f64 v[12:13], v[12:13], s[40:41]
	v_fma_f64 v[56:57], v[196:197], s[0:1], -v[54:55]
	v_add_f64 v[60:61], v[60:61], v[64:65]
	v_mul_f64 v[36:37], v[216:217], s[24:25]
	v_fma_f64 v[2:3], s[22:23], v[10:11], v[40:41]
	v_add_f64 v[42:43], v[42:43], v[44:45]
	v_mul_f64 v[20:21], v[20:21], s[46:47]
	v_fma_f64 v[48:49], v[200:201], s[34:35], -v[12:13]
	v_add_f64 v[56:57], v[56:57], v[60:61]
	v_fma_f64 v[38:39], s[16:17], v[16:17], v[36:37]
	v_add_f64 v[2:3], v[2:3], v[42:43]
	v_mul_f64 v[42:43], v[0:1], s[24:25]
	v_fma_f64 v[44:45], v[248:249], s[22:23], -v[20:21]
	v_add_f64 v[48:49], v[48:49], v[56:57]
	v_add_f64 v[2:3], v[38:39], v[2:3]
	v_mul_f64 v[38:39], v[6:7], s[42:43]
	v_fma_f64 v[0:1], v[8:9], s[16:17], -v[42:43]
	v_add_f64 v[44:45], v[44:45], v[48:49]
	v_fmac_f64_e32 v[34:35], s[0:1], v[18:19]
	v_mul_f64 v[32:33], v[220:221], s[42:43]
	v_fma_f64 v[6:7], v[18:19], s[38:39], -v[38:39]
	v_add_f64 v[0:1], v[0:1], v[44:45]
	v_fmac_f64_e32 v[42:43], s[16:17], v[8:9]
	v_add_f64 v[8:9], v[138:139], v[142:143]
	v_fmac_f64_e32 v[30:31], s[28:29], v[214:215]
	v_add_f64 v[24:25], v[34:35], v[24:25]
	v_mul_f64 v[28:29], v[222:223], s[30:31]
	v_fma_f64 v[34:35], s[38:39], v[212:213], v[32:33]
	v_add_f64 v[0:1], v[6:7], v[0:1]
	v_fma_f64 v[6:7], v[212:213], s[38:39], -v[32:33]
	v_fma_f64 v[32:33], v[254:255], s[28:29], -v[50:51]
	v_add_f64 v[8:9], v[8:9], v[146:147]
	v_add_f64 v[24:25], v[30:31], v[24:25]
	v_fma_f64 v[30:31], s[20:21], v[4:5], v[28:29]
	v_fma_f64 v[4:5], v[4:5], s[20:21], -v[28:29]
	v_fma_f64 v[28:29], v[244:245], s[26:27], -v[46:47]
	v_add_f64 v[32:33], v[138:139], v[32:33]
	v_add_f64 v[8:9], v[8:9], v[150:151]
	v_fma_f64 v[14:15], v[202:203], s[0:1], -v[14:15]
	v_add_f64 v[28:29], v[28:29], v[32:33]
	v_add_f64 v[8:9], v[8:9], v[154:155]
	v_fma_f64 v[22:23], v[246:247], s[34:35], -v[22:23]
	v_add_f64 v[14:15], v[14:15], v[28:29]
	v_add_f64 v[8:9], v[8:9], v[158:159]
	v_fma_f64 v[10:11], v[10:11], s[22:23], -v[40:41]
	v_add_f64 v[14:15], v[22:23], v[14:15]
	v_add_f64 v[8:9], v[8:9], v[162:163]
	v_fma_f64 v[16:17], v[16:17], s[16:17], -v[36:37]
	v_add_f64 v[10:11], v[10:11], v[14:15]
	v_add_f64 v[8:9], v[8:9], v[166:167]
	v_add_f64 v[10:11], v[16:17], v[10:11]
	v_add_f64 v[8:9], v[8:9], v[170:171]
	;; [unrolled: 1-line block ×3, first 2 shown]
	v_fmac_f64_e32 v[62:63], s[28:29], v[250:251]
	v_add_f64 v[8:9], v[8:9], v[174:175]
	v_add_f64 v[6:7], v[4:5], v[6:7]
	v_fmac_f64_e32 v[58:59], s[26:27], v[252:253]
	v_add_f64 v[4:5], v[136:137], v[62:63]
	v_add_f64 v[8:9], v[8:9], v[178:179]
	;; [unrolled: 3-line block ×4, first 2 shown]
	v_add_f64 v[4:5], v[12:13], v[4:5]
	v_add_f64 v[8:9], v[8:9], v[190:191]
	v_accvgpr_read_b32 v12, a88
	v_add_f64 v[8:9], v[8:9], v[134:135]
	v_accvgpr_read_b32 v14, a90
	v_accvgpr_read_b32 v15, a91
	v_add_f64 v[8:9], v[8:9], v[14:15]
	v_accvgpr_read_b32 v14, a92
	v_accvgpr_read_b32 v16, a94
	;; [unrolled: 1-line block ×3, first 2 shown]
	v_add_f64 v[10:11], v[8:9], v[16:17]
	v_add_f64 v[8:9], v[136:137], v[140:141]
	;; [unrolled: 1-line block ×14, first 2 shown]
	v_fmac_f64_e32 v[20:21], s[22:23], v[248:249]
	v_accvgpr_read_b32 v13, a89
	v_add_f64 v[8:9], v[8:9], v[132:133]
	v_add_f64 v[2:3], v[34:35], v[2:3]
	;; [unrolled: 1-line block ×4, first 2 shown]
	v_accvgpr_read_b32 v12, a2
	v_add_f64 v[2:3], v[30:31], v[2:3]
	v_mul_f64 v[30:31], v[218:219], s[30:31]
	v_fmac_f64_e32 v[38:39], s[38:39], v[18:19]
	v_add_f64 v[4:5], v[42:43], v[4:5]
	v_accvgpr_read_b32 v15, a93
	v_mul_lo_u16_e32 v12, 17, v12
	v_accvgpr_read_b32 v13, a1
	v_fma_f64 v[34:35], v[214:215], s[20:21], -v[30:31]
	v_fmac_f64_e32 v[30:31], s[20:21], v[214:215]
	v_add_f64 v[4:5], v[38:39], v[4:5]
	v_add_f64 v[8:9], v[8:9], v[14:15]
	v_lshl_add_u32 v12, v12, 4, v13
	v_accvgpr_read_b32 v69, a61
	v_add_f64 v[4:5], v[30:31], v[4:5]
	ds_write_b128 v12, v[8:11]
	ds_write_b128 v12, v[4:7] offset:16
	ds_write_b128 v12, v[24:27] offset:32
	;; [unrolled: 1-line block ×13, first 2 shown]
	v_accvgpr_read_b32 v233, a13
	v_accvgpr_read_b32 v229, a9
	ds_write_b128 v12, v[192:195] offset:224
	ds_write_b128 v12, v[236:239] offset:240
	v_accvgpr_read_b32 v237, a17
	v_accvgpr_read_b32 v68, a60
	;; [unrolled: 1-line block ×5, first 2 shown]
	v_add_f64 v[0:1], v[34:35], v[0:1]
	v_accvgpr_read_b32 v63, a55
	v_accvgpr_read_b32 v62, a54
	;; [unrolled: 1-line block ×15, first 2 shown]
	ds_write_b128 v12, v[0:3] offset:256
.LBB0_17:
	s_or_b64 exec, exec, s[6:7]
	v_accvgpr_read_b32 v33, a29
	v_accvgpr_read_b32 v32, a28
	s_waitcnt lgkmcnt(0)
	s_barrier
	ds_read_b128 v[0:3], v52 offset:9520
	ds_read_b128 v[4:7], v52
	ds_read_b128 v[8:11], v52 offset:1360
	ds_read_b128 v[12:15], v52 offset:10880
	;; [unrolled: 1-line block ×12, first 2 shown]
	v_accvgpr_read_b32 v31, a27
	v_accvgpr_read_b32 v30, a26
	s_waitcnt lgkmcnt(13)
	v_mul_f64 v[28:29], v[32:33], v[2:3]
	v_fmac_f64_e32 v[28:29], v[30:31], v[0:1]
	v_mul_f64 v[0:1], v[32:33], v[0:1]
	v_fma_f64 v[0:1], v[30:31], v[2:3], -v[0:1]
	v_accvgpr_read_b32 v33, a25
	v_accvgpr_read_b32 v32, a24
	;; [unrolled: 1-line block ×4, first 2 shown]
	s_waitcnt lgkmcnt(10)
	v_mul_f64 v[2:3], v[32:33], v[14:15]
	v_fmac_f64_e32 v[2:3], v[30:31], v[12:13]
	v_mul_f64 v[12:13], v[32:33], v[12:13]
	v_accvgpr_read_b32 v32, a34
	v_accvgpr_read_b32 v34, a36
	;; [unrolled: 1-line block ×4, first 2 shown]
	s_waitcnt lgkmcnt(9)
	v_mul_f64 v[36:37], v[34:35], v[18:19]
	v_fma_f64 v[30:31], v[30:31], v[14:15], -v[12:13]
	v_fmac_f64_e32 v[36:37], v[32:33], v[16:17]
	v_mul_f64 v[12:13], v[34:35], v[16:17]
	v_accvgpr_read_b32 v14, a30
	v_accvgpr_read_b32 v16, a32
	;; [unrolled: 1-line block ×3, first 2 shown]
	v_fma_f64 v[38:39], v[32:33], v[18:19], -v[12:13]
	v_accvgpr_read_b32 v15, a31
	s_waitcnt lgkmcnt(6)
	v_mul_f64 v[40:41], v[16:17], v[134:135]
	v_mul_f64 v[12:13], v[16:17], v[132:133]
	v_fmac_f64_e32 v[40:41], v[14:15], v[132:133]
	v_fma_f64 v[42:43], v[14:15], v[134:135], -v[12:13]
	v_accvgpr_read_b32 v14, a42
	v_accvgpr_read_b32 v16, a44
	v_accvgpr_read_b32 v17, a45
	v_accvgpr_read_b32 v15, a43
	s_waitcnt lgkmcnt(5)
	v_mul_f64 v[48:49], v[16:17], v[138:139]
	v_mul_f64 v[12:13], v[16:17], v[136:137]
	v_fmac_f64_e32 v[48:49], v[14:15], v[136:137]
	v_fma_f64 v[50:51], v[14:15], v[138:139], -v[12:13]
	v_accvgpr_read_b32 v14, a38
	v_accvgpr_read_b32 v16, a40
	v_accvgpr_read_b32 v17, a41
	;; [unrolled: 9-line block ×3, first 2 shown]
	v_accvgpr_read_b32 v15, a47
	s_waitcnt lgkmcnt(0)
	v_mul_f64 v[58:59], v[16:17], v[158:159]
	v_mul_f64 v[12:13], v[16:17], v[156:157]
	v_fmac_f64_e32 v[58:59], v[14:15], v[156:157]
	v_fma_f64 v[60:61], v[14:15], v[158:159], -v[12:13]
	v_add_f64 v[12:13], v[4:5], -v[28:29]
	v_add_f64 v[14:15], v[6:7], -v[0:1]
	;; [unrolled: 1-line block ×3, first 2 shown]
	v_fma_f64 v[16:17], v[4:5], 2.0, -v[12:13]
	v_fma_f64 v[18:19], v[6:7], 2.0, -v[14:15]
	v_add_f64 v[34:35], v[10:11], -v[30:31]
	v_fma_f64 v[8:9], v[8:9], 2.0, -v[32:33]
	v_add_f64 v[36:37], v[20:21], -v[36:37]
	v_add_f64 v[38:39], v[22:23], -v[38:39]
	v_fma_f64 v[10:11], v[10:11], 2.0, -v[34:35]
	v_fma_f64 v[20:21], v[20:21], 2.0, -v[36:37]
	;; [unrolled: 1-line block ×3, first 2 shown]
	v_add_f64 v[40:41], v[24:25], -v[40:41]
	v_add_f64 v[42:43], v[26:27], -v[42:43]
	;; [unrolled: 1-line block ×4, first 2 shown]
	s_barrier
	ds_write_b128 v238, v[16:19]
	ds_write_b128 v238, v[12:15] offset:272
	ds_write_b128 v239, v[8:11]
	ds_write_b128 v239, v[32:35] offset:272
	v_accvgpr_read_b32 v8, a52
	v_fma_f64 v[44:45], v[24:25], 2.0, -v[40:41]
	v_fma_f64 v[46:47], v[26:27], 2.0, -v[42:43]
	;; [unrolled: 1-line block ×4, first 2 shown]
	v_add_f64 v[4:5], v[144:145], -v[54:55]
	v_add_f64 v[6:7], v[146:147], -v[56:57]
	;; [unrolled: 1-line block ×4, first 2 shown]
	ds_write_b128 v8, v[20:23]
	ds_write_b128 v8, v[36:39] offset:272
	v_accvgpr_read_b32 v8, a53
	v_fma_f64 v[0:1], v[144:145], 2.0, -v[4:5]
	v_fma_f64 v[2:3], v[146:147], 2.0, -v[6:7]
	v_fma_f64 v[24:25], v[148:149], 2.0, -v[28:29]
	v_fma_f64 v[26:27], v[150:151], 2.0, -v[30:31]
	ds_write_b128 v8, v[44:47]
	ds_write_b128 v8, v[40:43] offset:272
	ds_write_b128 v62, v[132:135]
	ds_write_b128 v62, v[48:51] offset:272
	;; [unrolled: 2-line block ×4, first 2 shown]
	s_waitcnt lgkmcnt(0)
	s_barrier
	ds_read_b128 v[36:39], v52
	ds_read_b128 v[32:35], v52 offset:1360
	ds_read_b128 v[148:151], v52 offset:3808
	;; [unrolled: 1-line block ×9, first 2 shown]
	s_and_saveexec_b64 s[0:1], s[2:3]
	s_cbranch_execz .LBB0_19
; %bb.18:
	ds_read_b128 v[0:3], v52 offset:2720
	ds_read_b128 v[4:7], v52 offset:6528
	;; [unrolled: 1-line block ×5, first 2 shown]
.LBB0_19:
	s_or_b64 exec, exec, s[0:1]
	v_accvgpr_read_b32 v12, a70
	v_accvgpr_read_b32 v14, a72
	;; [unrolled: 1-line block ×4, first 2 shown]
	s_waitcnt lgkmcnt(7)
	v_mul_f64 v[20:21], v[14:15], v[150:151]
	v_mul_f64 v[10:11], v[14:15], v[148:149]
	v_fmac_f64_e32 v[20:21], v[12:13], v[148:149]
	v_fma_f64 v[22:23], v[12:13], v[150:151], -v[10:11]
	v_accvgpr_read_b32 v12, a66
	v_accvgpr_read_b32 v14, a68
	;; [unrolled: 1-line block ×4, first 2 shown]
	s_waitcnt lgkmcnt(5)
	v_mul_f64 v[54:55], v[14:15], v[146:147]
	v_mul_f64 v[10:11], v[14:15], v[144:145]
	v_fmac_f64_e32 v[54:55], v[12:13], v[144:145]
	v_fma_f64 v[56:57], v[12:13], v[146:147], -v[10:11]
	v_accvgpr_read_b32 v12, a62
	v_accvgpr_read_b32 v14, a64
	;; [unrolled: 1-line block ×4, first 2 shown]
	s_waitcnt lgkmcnt(3)
	v_mul_f64 v[10:11], v[14:15], v[140:141]
	v_fma_f64 v[60:61], v[12:13], v[142:143], -v[10:11]
	s_waitcnt lgkmcnt(1)
	v_mul_f64 v[10:11], v[68:69], v[136:137]
	v_mul_f64 v[58:59], v[14:15], v[142:143]
	v_fma_f64 v[64:65], v[66:67], v[138:139], -v[10:11]
	v_mul_f64 v[10:11], v[82:83], v[132:133]
	v_fmac_f64_e32 v[58:59], v[12:13], v[140:141]
	v_mul_f64 v[62:63], v[68:69], v[138:139]
	v_fma_f64 v[68:69], v[80:81], v[134:135], -v[10:11]
	v_mul_f64 v[70:71], v[78:79], v[50:51]
	v_mul_f64 v[10:11], v[78:79], v[48:49]
	v_accvgpr_read_b32 v12, a74
	v_fmac_f64_e32 v[70:71], v[76:77], v[48:49]
	v_fma_f64 v[76:77], v[76:77], v[50:51], -v[10:11]
	v_mul_f64 v[78:79], v[74:75], v[46:47]
	v_mul_f64 v[10:11], v[74:75], v[44:45]
	v_accvgpr_read_b32 v14, a76
	v_accvgpr_read_b32 v15, a77
	v_fmac_f64_e32 v[62:63], v[66:67], v[136:137]
	v_mul_f64 v[66:67], v[82:83], v[134:135]
	v_fmac_f64_e32 v[78:79], v[72:73], v[44:45]
	v_fma_f64 v[72:73], v[72:73], v[46:47], -v[10:11]
	v_accvgpr_read_b32 v13, a75
	s_waitcnt lgkmcnt(0)
	v_mul_f64 v[74:75], v[14:15], v[42:43]
	v_mul_f64 v[10:11], v[14:15], v[40:41]
	v_fmac_f64_e32 v[66:67], v[80:81], v[132:133]
	v_fmac_f64_e32 v[74:75], v[12:13], v[40:41]
	v_fma_f64 v[80:81], v[12:13], v[42:43], -v[10:11]
	v_add_f64 v[12:13], v[54:55], v[58:59]
	s_mov_b32 s0, 0x134454ff
	v_fma_f64 v[14:15], -0.5, v[12:13], v[36:37]
	v_add_f64 v[12:13], v[22:23], -v[64:65]
	s_mov_b32 s1, 0xbfee6f0e
	s_mov_b32 s6, 0x4755a5e
	;; [unrolled: 1-line block ×4, first 2 shown]
	v_fma_f64 v[18:19], s[0:1], v[12:13], v[14:15]
	v_add_f64 v[16:17], v[56:57], -v[60:61]
	s_mov_b32 s7, 0xbfe2cf23
	v_add_f64 v[40:41], v[20:21], -v[54:55]
	v_add_f64 v[42:43], v[62:63], -v[58:59]
	s_mov_b32 s16, 0x372fe950
	v_fmac_f64_e32 v[14:15], s[18:19], v[12:13]
	s_mov_b32 s21, 0x3fe2cf23
	s_mov_b32 s20, s6
	v_fmac_f64_e32 v[18:19], s[6:7], v[16:17]
	v_add_f64 v[40:41], v[40:41], v[42:43]
	s_mov_b32 s17, 0x3fd3c6ef
	v_fmac_f64_e32 v[14:15], s[20:21], v[16:17]
	v_fmac_f64_e32 v[18:19], s[16:17], v[40:41]
	;; [unrolled: 1-line block ×3, first 2 shown]
	v_add_f64 v[40:41], v[20:21], v[62:63]
	v_add_f64 v[10:11], v[36:37], v[20:21]
	v_fmac_f64_e32 v[36:37], -0.5, v[40:41]
	v_fma_f64 v[40:41], s[18:19], v[16:17], v[36:37]
	v_add_f64 v[42:43], v[54:55], -v[20:21]
	v_add_f64 v[44:45], v[58:59], -v[62:63]
	v_fmac_f64_e32 v[36:37], s[0:1], v[16:17]
	v_add_f64 v[16:17], v[56:57], v[60:61]
	v_fmac_f64_e32 v[40:41], s[6:7], v[12:13]
	v_add_f64 v[42:43], v[42:43], v[44:45]
	v_fmac_f64_e32 v[36:37], s[20:21], v[12:13]
	v_fma_f64 v[16:17], -0.5, v[16:17], v[38:39]
	v_add_f64 v[44:45], v[20:21], -v[62:63]
	v_fmac_f64_e32 v[40:41], s[16:17], v[42:43]
	v_fmac_f64_e32 v[36:37], s[16:17], v[42:43]
	v_fma_f64 v[20:21], s[18:19], v[44:45], v[16:17]
	v_add_f64 v[46:47], v[54:55], -v[58:59]
	v_add_f64 v[42:43], v[22:23], -v[56:57]
	v_add_f64 v[48:49], v[64:65], -v[60:61]
	v_fmac_f64_e32 v[16:17], s[0:1], v[44:45]
	v_fmac_f64_e32 v[20:21], s[20:21], v[46:47]
	v_add_f64 v[42:43], v[42:43], v[48:49]
	v_fmac_f64_e32 v[16:17], s[6:7], v[46:47]
	v_fmac_f64_e32 v[20:21], s[16:17], v[42:43]
	;; [unrolled: 1-line block ×3, first 2 shown]
	v_add_f64 v[42:43], v[22:23], v[64:65]
	v_add_f64 v[12:13], v[38:39], v[22:23]
	v_fmac_f64_e32 v[38:39], -0.5, v[42:43]
	v_fma_f64 v[42:43], s[0:1], v[46:47], v[38:39]
	v_add_f64 v[22:23], v[56:57], -v[22:23]
	v_add_f64 v[48:49], v[60:61], -v[64:65]
	v_fmac_f64_e32 v[38:39], s[18:19], v[46:47]
	v_fmac_f64_e32 v[42:43], s[20:21], v[44:45]
	v_add_f64 v[22:23], v[22:23], v[48:49]
	v_fmac_f64_e32 v[38:39], s[6:7], v[44:45]
	v_fmac_f64_e32 v[42:43], s[16:17], v[22:23]
	;; [unrolled: 1-line block ×3, first 2 shown]
	v_add_f64 v[22:23], v[32:33], v[66:67]
	v_add_f64 v[22:23], v[22:23], v[70:71]
	;; [unrolled: 1-line block ×5, first 2 shown]
	v_fma_f64 v[48:49], -0.5, v[22:23], v[32:33]
	v_add_f64 v[22:23], v[68:69], -v[80:81]
	v_add_f64 v[10:11], v[10:11], v[54:55]
	v_add_f64 v[12:13], v[12:13], v[56:57]
	v_fma_f64 v[56:57], s[0:1], v[22:23], v[48:49]
	v_add_f64 v[46:47], v[76:77], -v[72:73]
	v_add_f64 v[50:51], v[66:67], -v[70:71]
	;; [unrolled: 1-line block ×3, first 2 shown]
	v_fmac_f64_e32 v[48:49], s[18:19], v[22:23]
	v_fmac_f64_e32 v[56:57], s[6:7], v[46:47]
	v_add_f64 v[50:51], v[50:51], v[54:55]
	v_fmac_f64_e32 v[48:49], s[20:21], v[46:47]
	v_fmac_f64_e32 v[56:57], s[16:17], v[50:51]
	;; [unrolled: 1-line block ×3, first 2 shown]
	v_add_f64 v[50:51], v[66:67], v[74:75]
	v_fmac_f64_e32 v[32:33], -0.5, v[50:51]
	v_add_f64 v[12:13], v[12:13], v[60:61]
	v_fma_f64 v[60:61], s[18:19], v[46:47], v[32:33]
	v_fmac_f64_e32 v[32:33], s[0:1], v[46:47]
	v_fmac_f64_e32 v[60:61], s[6:7], v[22:23]
	;; [unrolled: 1-line block ×3, first 2 shown]
	v_add_f64 v[22:23], v[34:35], v[68:69]
	v_add_f64 v[22:23], v[22:23], v[76:77]
	v_add_f64 v[50:51], v[70:71], -v[66:67]
	v_add_f64 v[54:55], v[78:79], -v[74:75]
	v_add_f64 v[22:23], v[22:23], v[72:73]
	v_add_f64 v[50:51], v[50:51], v[54:55]
	;; [unrolled: 1-line block ×5, first 2 shown]
	v_fmac_f64_e32 v[60:61], s[16:17], v[50:51]
	v_fmac_f64_e32 v[32:33], s[16:17], v[50:51]
	v_fma_f64 v[50:51], -0.5, v[22:23], v[34:35]
	v_add_f64 v[22:23], v[66:67], -v[74:75]
	v_add_f64 v[10:11], v[10:11], v[62:63]
	v_add_f64 v[12:13], v[12:13], v[64:65]
	v_fma_f64 v[58:59], s[18:19], v[22:23], v[50:51]
	v_add_f64 v[54:55], v[70:71], -v[78:79]
	v_add_f64 v[62:63], v[68:69], -v[76:77]
	;; [unrolled: 1-line block ×3, first 2 shown]
	v_fmac_f64_e32 v[50:51], s[0:1], v[22:23]
	v_fmac_f64_e32 v[58:59], s[20:21], v[54:55]
	v_add_f64 v[62:63], v[62:63], v[64:65]
	v_fmac_f64_e32 v[50:51], s[6:7], v[54:55]
	v_fmac_f64_e32 v[58:59], s[16:17], v[62:63]
	;; [unrolled: 1-line block ×3, first 2 shown]
	v_add_f64 v[62:63], v[68:69], v[80:81]
	v_fmac_f64_e32 v[34:35], -0.5, v[62:63]
	v_fma_f64 v[62:63], s[0:1], v[54:55], v[34:35]
	v_add_f64 v[64:65], v[76:77], -v[68:69]
	v_add_f64 v[66:67], v[72:73], -v[80:81]
	v_fmac_f64_e32 v[34:35], s[18:19], v[54:55]
	v_accvgpr_read_b32 v9, a57
	v_add_u32_e32 v8, 0x550, v53
	v_fmac_f64_e32 v[62:63], s[20:21], v[22:23]
	v_add_f64 v[64:65], v[64:65], v[66:67]
	v_fmac_f64_e32 v[34:35], s[6:7], v[22:23]
	s_barrier
	ds_write_b128 v9, v[10:13]
	ds_write_b128 v9, v[18:21] offset:544
	ds_write_b128 v9, v[40:43] offset:1088
	;; [unrolled: 1-line block ×4, first 2 shown]
	v_accvgpr_read_b32 v9, a78
	v_fmac_f64_e32 v[62:63], s[16:17], v[64:65]
	v_fmac_f64_e32 v[34:35], s[16:17], v[64:65]
	ds_write_b128 v9, v[44:47]
	ds_write_b128 v9, v[56:59] offset:544
	ds_write_b128 v9, v[60:63] offset:1088
	;; [unrolled: 1-line block ×4, first 2 shown]
	s_and_saveexec_b64 s[22:23], s[2:3]
	s_cbranch_execz .LBB0_21
; %bb.20:
	v_accvgpr_read_b32 v35, a21
	v_accvgpr_read_b32 v34, a20
	;; [unrolled: 1-line block ×4, first 2 shown]
	v_mul_f64 v[10:11], v[34:35], v[24:25]
	v_mul_f64 v[16:17], v[236:237], v[28:29]
	v_fma_f64 v[14:15], v[32:33], v[26:27], -v[10:11]
	v_mul_f64 v[10:11], v[232:233], v[4:5]
	v_fma_f64 v[18:19], v[234:235], v[30:31], -v[16:17]
	;; [unrolled: 2-line block ×3, first 2 shown]
	v_fma_f64 v[22:23], v[226:227], v[194:195], -v[16:17]
	v_add_f64 v[12:13], v[14:15], -v[10:11]
	v_add_f64 v[16:17], v[18:19], -v[22:23]
	v_mul_f64 v[26:27], v[34:35], v[26:27]
	v_mul_f64 v[30:31], v[236:237], v[30:31]
	v_add_f64 v[20:21], v[12:13], v[16:17]
	v_fmac_f64_e32 v[26:27], v[32:33], v[24:25]
	v_fmac_f64_e32 v[30:31], v[234:235], v[28:29]
	v_add_f64 v[12:13], v[10:11], v[22:23]
	v_mul_f64 v[6:7], v[232:233], v[6:7]
	v_mul_f64 v[28:29], v[228:229], v[194:195]
	v_add_f64 v[24:25], v[26:27], -v[30:31]
	v_fma_f64 v[12:13], -0.5, v[12:13], v[2:3]
	v_fmac_f64_e32 v[6:7], v[230:231], v[4:5]
	v_fmac_f64_e32 v[28:29], v[226:227], v[192:193]
	v_fma_f64 v[16:17], s[18:19], v[24:25], v[12:13]
	v_add_f64 v[32:33], v[6:7], -v[28:29]
	v_fmac_f64_e32 v[12:13], s[0:1], v[24:25]
	v_fmac_f64_e32 v[16:17], s[6:7], v[32:33]
	;; [unrolled: 1-line block ×5, first 2 shown]
	v_add_f64 v[4:5], v[10:11], -v[14:15]
	v_add_f64 v[20:21], v[22:23], -v[18:19]
	v_add_f64 v[34:35], v[4:5], v[20:21]
	v_add_f64 v[4:5], v[14:15], v[18:19]
	v_fma_f64 v[4:5], -0.5, v[4:5], v[2:3]
	v_add_f64 v[2:3], v[2:3], v[10:11]
	v_add_f64 v[2:3], v[2:3], v[14:15]
	v_fma_f64 v[20:21], s[0:1], v[32:33], v[4:5]
	v_fmac_f64_e32 v[4:5], s[18:19], v[32:33]
	v_add_f64 v[2:3], v[2:3], v[18:19]
	v_fmac_f64_e32 v[20:21], s[6:7], v[24:25]
	v_fmac_f64_e32 v[4:5], s[20:21], v[24:25]
	v_add_f64 v[24:25], v[2:3], v[22:23]
	v_add_f64 v[2:3], v[26:27], -v[6:7]
	v_add_f64 v[32:33], v[30:31], -v[28:29]
	v_add_f64 v[22:23], v[10:11], -v[22:23]
	v_add_f64 v[10:11], v[6:7], v[28:29]
	v_add_f64 v[2:3], v[2:3], v[32:33]
	v_fma_f64 v[10:11], -0.5, v[10:11], v[0:1]
	v_add_f64 v[32:33], v[14:15], -v[18:19]
	v_fma_f64 v[14:15], s[0:1], v[32:33], v[10:11]
	v_fmac_f64_e32 v[10:11], s[18:19], v[32:33]
	v_fmac_f64_e32 v[14:15], s[20:21], v[22:23]
	;; [unrolled: 1-line block ×5, first 2 shown]
	v_add_f64 v[2:3], v[6:7], -v[26:27]
	v_add_f64 v[18:19], v[28:29], -v[30:31]
	v_fmac_f64_e32 v[20:21], s[16:17], v[34:35]
	v_fmac_f64_e32 v[4:5], s[16:17], v[34:35]
	v_add_f64 v[34:35], v[2:3], v[18:19]
	v_add_f64 v[2:3], v[26:27], v[30:31]
	v_fma_f64 v[2:3], -0.5, v[2:3], v[0:1]
	v_add_f64 v[0:1], v[0:1], v[6:7]
	v_add_f64 v[0:1], v[0:1], v[26:27]
	;; [unrolled: 1-line block ×3, first 2 shown]
	v_fma_f64 v[18:19], s[18:19], v[22:23], v[2:3]
	v_fmac_f64_e32 v[2:3], s[0:1], v[22:23]
	v_add_f64 v[22:23], v[0:1], v[28:29]
	v_mul_u32_u24_e32 v0, 0xaa, v224
	v_add_u32_sdwa v0, v0, v225 dst_sel:DWORD dst_unused:UNUSED_PAD src0_sel:DWORD src1_sel:BYTE_0
	v_accvgpr_read_b32 v1, a1
	v_fmac_f64_e32 v[18:19], s[20:21], v[32:33]
	v_fmac_f64_e32 v[2:3], s[6:7], v[32:33]
	v_lshl_add_u32 v0, v0, 4, v1
	v_fmac_f64_e32 v[18:19], s[16:17], v[34:35]
	v_fmac_f64_e32 v[2:3], s[16:17], v[34:35]
	ds_write_b128 v0, v[22:25]
	ds_write_b128 v0, v[2:5] offset:544
	ds_write_b128 v0, v[10:13] offset:1088
	;; [unrolled: 1-line block ×4, first 2 shown]
.LBB0_21:
	s_or_b64 exec, exec, s[22:23]
	s_waitcnt lgkmcnt(0)
	s_barrier
	ds_read_b128 v[4:7], v52
	ds_read_b128 v[0:3], v52 offset:1360
	ds_read_b128 v[10:13], v52 offset:2720
	;; [unrolled: 1-line block ×13, first 2 shown]
	s_waitcnt lgkmcnt(11)
	v_mul_f64 v[50:51], v[98:99], v[12:13]
	v_fmac_f64_e32 v[50:51], v[96:97], v[10:11]
	v_mul_f64 v[10:11], v[98:99], v[10:11]
	v_fma_f64 v[10:11], v[96:97], v[12:13], -v[10:11]
	s_waitcnt lgkmcnt(9)
	v_mul_f64 v[12:13], v[94:95], v[20:21]
	v_fmac_f64_e32 v[12:13], v[92:93], v[18:19]
	v_mul_f64 v[18:19], v[94:95], v[18:19]
	v_fma_f64 v[18:19], v[92:93], v[20:21], -v[18:19]
	;; [unrolled: 5-line block ×6, first 2 shown]
	v_mul_f64 v[56:57], v[122:123], v[16:17]
	v_fmac_f64_e32 v[56:57], v[120:121], v[14:15]
	v_mul_f64 v[14:15], v[122:123], v[14:15]
	v_fma_f64 v[62:63], v[120:121], v[16:17], -v[14:15]
	v_mul_f64 v[14:15], v[118:119], v[22:23]
	v_fma_f64 v[66:67], v[116:117], v[24:25], -v[14:15]
	;; [unrolled: 2-line block ×3, first 2 shown]
	v_mul_f64 v[72:73], v[110:111], v[40:41]
	v_mul_f64 v[14:15], v[110:111], v[38:39]
	v_fmac_f64_e32 v[72:73], v[108:109], v[38:39]
	v_fma_f64 v[38:39], v[108:109], v[40:41], -v[14:15]
	v_mul_f64 v[40:41], v[130:131], v[48:49]
	v_mul_f64 v[14:15], v[130:131], v[46:47]
	v_fmac_f64_e32 v[40:41], v[128:129], v[46:47]
	v_fma_f64 v[46:47], v[128:129], v[48:49], -v[14:15]
	s_waitcnt lgkmcnt(0)
	v_mul_f64 v[48:49], v[126:127], v[60:61]
	v_mul_f64 v[14:15], v[126:127], v[58:59]
	;; [unrolled: 1-line block ×4, first 2 shown]
	v_fmac_f64_e32 v[48:49], v[124:125], v[58:59]
	v_fma_f64 v[58:59], v[124:125], v[60:61], -v[14:15]
	v_add_f64 v[14:15], v[50:51], v[44:45]
	v_add_f64 v[24:25], v[12:13], v[36:37]
	v_fmac_f64_e32 v[68:69], v[112:113], v[30:31]
	v_add_f64 v[16:17], v[10:11], v[54:55]
	v_add_f64 v[30:31], v[18:19], v[42:43]
	;; [unrolled: 1-line block ×3, first 2 shown]
	v_add_f64 v[20:21], v[28:29], -v[20:21]
	v_add_f64 v[28:29], v[24:25], v[14:15]
	v_add_f64 v[12:13], v[12:13], -v[36:37]
	v_add_f64 v[36:37], v[26:27], v[34:35]
	;; [unrolled: 2-line block ×3, first 2 shown]
	v_add_f64 v[28:29], v[32:33], v[28:29]
	v_add_f64 v[18:19], v[18:19], -v[42:43]
	v_add_f64 v[42:43], v[24:25], -v[14:15]
	;; [unrolled: 1-line block ×4, first 2 shown]
	v_add_f64 v[32:33], v[36:37], v[34:35]
	v_add_f64 v[4:5], v[4:5], v[28:29]
	s_mov_b32 s2, 0x37e14327
	s_mov_b32 s0, 0x36b3c0b5
	;; [unrolled: 1-line block ×4, first 2 shown]
	v_fmac_f64_e32 v[64:65], v[116:117], v[22:23]
	v_add_f64 v[22:23], v[50:51], -v[44:45]
	v_add_f64 v[10:11], v[10:11], -v[54:55]
	;; [unrolled: 1-line block ×5, first 2 shown]
	v_add_f64 v[50:51], v[20:21], v[12:13]
	v_add_f64 v[54:55], v[26:27], v[18:19]
	v_add_f64 v[60:61], v[20:21], -v[12:13]
	v_add_f64 v[74:75], v[26:27], -v[18:19]
	v_add_f64 v[6:7], v[6:7], v[32:33]
	s_mov_b32 s3, 0x3fe948f6
	s_mov_b32 s1, 0x3fac98ee
	;; [unrolled: 1-line block ×5, first 2 shown]
	v_mov_b64_e32 v[76:77], v[4:5]
	s_mov_b32 s20, 0x5476071b
	v_add_f64 v[20:21], v[22:23], -v[20:21]
	v_add_f64 v[26:27], v[10:11], -v[26:27]
	;; [unrolled: 1-line block ×4, first 2 shown]
	v_add_f64 v[22:23], v[50:51], v[22:23]
	v_add_f64 v[10:11], v[54:55], v[10:11]
	v_mul_f64 v[14:15], v[14:15], s[2:3]
	v_mul_f64 v[16:17], v[16:17], s[2:3]
	;; [unrolled: 1-line block ×6, first 2 shown]
	s_mov_b32 s7, 0xbfebfeb5
	v_fmac_f64_e32 v[76:77], s[18:19], v[28:29]
	v_mov_b64_e32 v[28:29], v[6:7]
	s_mov_b32 s21, 0x3fe77f67
	s_mov_b32 s23, 0xbfe77f67
	;; [unrolled: 1-line block ×5, first 2 shown]
	v_mul_f64 v[60:61], v[12:13], s[6:7]
	v_mul_f64 v[74:75], v[18:19], s[6:7]
	v_fmac_f64_e32 v[28:29], s[18:19], v[32:33]
	v_fma_f64 v[32:33], v[42:43], s[20:21], -v[34:35]
	v_fma_f64 v[34:35], v[44:45], s[20:21], -v[36:37]
	;; [unrolled: 1-line block ×3, first 2 shown]
	v_fmac_f64_e32 v[14:15], s[0:1], v[24:25]
	v_fma_f64 v[24:25], v[44:45], s[22:23], -v[16:17]
	v_fmac_f64_e32 v[16:17], s[0:1], v[30:31]
	s_mov_b32 s25, 0xbfd5d0dc
	v_fma_f64 v[30:31], v[12:13], s[6:7], -v[50:51]
	v_fma_f64 v[42:43], v[18:19], s[6:7], -v[54:55]
	s_mov_b32 s29, 0x3fd5d0dc
	s_mov_b32 s28, s24
	;; [unrolled: 1-line block ×3, first 2 shown]
	v_fmac_f64_e32 v[50:51], s[24:25], v[20:21]
	v_fmac_f64_e32 v[54:55], s[24:25], v[26:27]
	v_fma_f64 v[44:45], v[20:21], s[28:29], -v[60:61]
	v_fma_f64 v[26:27], v[26:27], s[28:29], -v[74:75]
	v_add_f64 v[32:33], v[32:33], v[76:77]
	v_add_f64 v[34:35], v[34:35], v[28:29]
	v_fmac_f64_e32 v[30:31], s[26:27], v[22:23]
	v_fmac_f64_e32 v[42:43], s[26:27], v[10:11]
	v_add_f64 v[60:61], v[14:15], v[76:77]
	v_add_f64 v[74:75], v[16:17], v[28:29]
	;; [unrolled: 1-line block ×4, first 2 shown]
	v_fmac_f64_e32 v[50:51], s[26:27], v[22:23]
	v_fmac_f64_e32 v[54:55], s[26:27], v[10:11]
	v_fmac_f64_e32 v[44:45], s[26:27], v[22:23]
	v_fmac_f64_e32 v[26:27], s[26:27], v[10:11]
	v_add_f64 v[18:19], v[32:33], -v[42:43]
	v_add_f64 v[20:21], v[30:31], v[34:35]
	v_add_f64 v[22:23], v[42:43], v[32:33]
	v_add_f64 v[24:25], v[34:35], -v[30:31]
	v_add_f64 v[34:35], v[56:57], v[48:49]
	v_add_f64 v[42:43], v[56:57], -v[48:49]
	v_add_f64 v[48:49], v[64:65], v[40:41]
	v_add_f64 v[10:11], v[54:55], v[60:61]
	v_add_f64 v[12:13], v[74:75], -v[50:51]
	v_add_f64 v[14:15], v[26:27], v[36:37]
	v_add_f64 v[26:27], v[36:37], -v[26:27]
	v_add_f64 v[30:31], v[60:61], -v[54:55]
	v_add_f64 v[32:33], v[50:51], v[74:75]
	v_add_f64 v[36:37], v[62:63], v[58:59]
	;; [unrolled: 1-line block ×5, first 2 shown]
	v_add_f64 v[16:17], v[28:29], -v[44:45]
	v_add_f64 v[28:29], v[44:45], v[28:29]
	v_add_f64 v[44:45], v[62:63], -v[58:59]
	v_add_f64 v[40:41], v[64:65], -v[40:41]
	v_add_f64 v[56:57], v[70:71], v[38:39]
	v_add_f64 v[62:63], v[50:51], v[36:37]
	v_add_f64 v[64:65], v[48:49], -v[34:35]
	v_add_f64 v[34:35], v[34:35], -v[54:55]
	;; [unrolled: 1-line block ×3, first 2 shown]
	v_add_f64 v[54:55], v[54:55], v[60:61]
	v_add_f64 v[46:47], v[66:67], -v[46:47]
	v_add_f64 v[58:59], v[72:73], -v[68:69]
	;; [unrolled: 1-line block ×6, first 2 shown]
	v_add_f64 v[56:57], v[56:57], v[62:63]
	v_add_f64 v[0:1], v[0:1], v[54:55]
	v_add_f64 v[68:69], v[58:59], v[40:41]
	v_add_f64 v[70:71], v[38:39], v[46:47]
	v_add_f64 v[72:73], v[58:59], -v[40:41]
	v_add_f64 v[74:75], v[38:39], -v[46:47]
	;; [unrolled: 1-line block ×4, first 2 shown]
	v_add_f64 v[2:3], v[2:3], v[56:57]
	v_mov_b64_e32 v[76:77], v[0:1]
	v_add_f64 v[58:59], v[42:43], -v[58:59]
	v_add_f64 v[38:39], v[44:45], -v[38:39]
	v_add_f64 v[42:43], v[68:69], v[42:43]
	v_add_f64 v[44:45], v[70:71], v[44:45]
	v_mul_f64 v[34:35], v[34:35], s[2:3]
	v_mul_f64 v[36:37], v[36:37], s[2:3]
	;; [unrolled: 1-line block ×8, first 2 shown]
	v_fmac_f64_e32 v[76:77], s[18:19], v[54:55]
	v_mov_b64_e32 v[54:55], v[2:3]
	v_fmac_f64_e32 v[54:55], s[18:19], v[56:57]
	v_fma_f64 v[48:49], s[0:1], v[48:49], v[34:35]
	v_fma_f64 v[56:57], v[64:65], s[20:21], -v[60:61]
	v_fma_f64 v[60:61], v[66:67], s[20:21], -v[62:63]
	;; [unrolled: 1-line block ×4, first 2 shown]
	v_fmac_f64_e32 v[36:37], s[0:1], v[50:51]
	v_fma_f64 v[50:51], s[24:25], v[58:59], v[68:69]
	v_fma_f64 v[64:65], v[40:41], s[6:7], -v[68:69]
	v_fma_f64 v[46:47], v[46:47], s[6:7], -v[70:71]
	v_fmac_f64_e32 v[70:71], s[24:25], v[38:39]
	v_fma_f64 v[58:59], v[58:59], s[28:29], -v[72:73]
	v_fma_f64 v[66:67], v[38:39], s[28:29], -v[74:75]
	v_add_f64 v[68:69], v[48:49], v[76:77]
	v_add_f64 v[72:73], v[36:37], v[54:55]
	;; [unrolled: 1-line block ×6, first 2 shown]
	v_fmac_f64_e32 v[50:51], s[26:27], v[42:43]
	v_fmac_f64_e32 v[70:71], s[26:27], v[44:45]
	;; [unrolled: 1-line block ×6, first 2 shown]
	v_add_f64 v[34:35], v[70:71], v[68:69]
	v_add_f64 v[36:37], v[72:73], -v[50:51]
	v_add_f64 v[38:39], v[66:67], v[60:61]
	v_add_f64 v[40:41], v[62:63], -v[58:59]
	v_add_f64 v[42:43], v[48:49], -v[46:47]
	v_add_f64 v[44:45], v[64:65], v[56:57]
	v_add_f64 v[46:47], v[46:47], v[48:49]
	v_add_f64 v[48:49], v[56:57], -v[64:65]
	v_add_f64 v[54:55], v[60:61], -v[66:67]
	v_add_f64 v[56:57], v[58:59], v[62:63]
	v_add_f64 v[58:59], v[68:69], -v[70:71]
	v_add_f64 v[60:61], v[50:51], v[72:73]
	ds_write_b128 v53, v[4:7]
	ds_write_b128 v53, v[10:13] offset:2720
	ds_write_b128 v53, v[14:17] offset:5440
	;; [unrolled: 1-line block ×13, first 2 shown]
	s_and_b64 s[0:1], exec, s[4:5]
	v_accvgpr_read_b32 v24, a2
	v_accvgpr_read_b32 v26, a4
	s_waitcnt lgkmcnt(0)
	s_barrier
	s_mov_b64 exec, s[0:1]
	s_cbranch_execz .LBB0_23
; %bb.22:
	v_accvgpr_read_b32 v22, a0
	global_load_dwordx4 v[0:3], v22, s[12:13]
	v_mad_u64_u32 v[14:15], s[0:1], s10, v26, 0
	ds_read_b128 v[4:7], v53
	ds_read_b128 v[8:11], v53 offset:1120
	v_mov_b32_e32 v18, v15
	v_mad_u64_u32 v[16:17], s[2:3], s8, v24, 0
	v_mad_u64_u32 v[18:19], s[2:3], s11, v26, v[18:19]
	v_mov_b32_e32 v12, s14
	v_mov_b32_e32 v13, s15
	;; [unrolled: 1-line block ×4, first 2 shown]
	s_mov_b32 s0, 0x1b89401c
	v_mad_u64_u32 v[20:21], s[2:3], s9, v24, v[20:21]
	v_lshl_add_u64 v[12:13], v[14:15], 4, v[12:13]
	s_mov_b32 s1, 0x3f4b8940
	v_mov_b32_e32 v17, v20
	v_lshl_add_u64 v[12:13], v[16:17], 4, v[12:13]
	s_mul_i32 s2, s9, 0x460
	v_mov_b32_e32 v23, 0
	s_movk_i32 s3, 0x1000
	s_waitcnt vmcnt(0) lgkmcnt(1)
	v_mul_f64 v[14:15], v[6:7], v[2:3]
	v_mul_f64 v[2:3], v[4:5], v[2:3]
	v_fmac_f64_e32 v[14:15], v[4:5], v[0:1]
	v_fma_f64 v[2:3], v[0:1], v[6:7], -v[2:3]
	v_mul_f64 v[0:1], v[14:15], s[0:1]
	v_mul_f64 v[2:3], v[2:3], s[0:1]
	global_store_dwordx4 v[12:13], v[0:3], off
	global_load_dwordx4 v[4:7], v22, s[12:13] offset:1120
	s_nop 0
	v_mov_b32_e32 v2, 0x460
	v_mad_u64_u32 v[0:1], s[4:5], s8, v2, v[12:13]
	v_add_u32_e32 v1, s2, v1
	v_mad_u64_u32 v[16:17], s[4:5], s8, v2, v[0:1]
	v_add_u32_e32 v17, s2, v17
	s_waitcnt vmcnt(0) lgkmcnt(0)
	v_mul_f64 v[12:13], v[10:11], v[6:7]
	v_mul_f64 v[6:7], v[8:9], v[6:7]
	v_fmac_f64_e32 v[12:13], v[8:9], v[4:5]
	v_fma_f64 v[6:7], v[4:5], v[10:11], -v[6:7]
	v_mul_f64 v[4:5], v[12:13], s[0:1]
	v_mul_f64 v[6:7], v[6:7], s[0:1]
	global_store_dwordx4 v[0:1], v[4:7], off
	global_load_dwordx4 v[4:7], v22, s[12:13] offset:2240
	ds_read_b128 v[8:11], v53 offset:2240
	ds_read_b128 v[12:15], v53 offset:3360
	s_waitcnt vmcnt(0) lgkmcnt(1)
	v_mul_f64 v[0:1], v[10:11], v[6:7]
	v_mul_f64 v[6:7], v[8:9], v[6:7]
	v_fmac_f64_e32 v[0:1], v[8:9], v[4:5]
	v_fma_f64 v[6:7], v[4:5], v[10:11], -v[6:7]
	v_mul_f64 v[4:5], v[0:1], s[0:1]
	v_mul_f64 v[6:7], v[6:7], s[0:1]
	global_store_dwordx4 v[16:17], v[4:7], off
	global_load_dwordx4 v[4:7], v22, s[12:13] offset:3360
	v_lshl_add_u64 v[0:1], s[12:13], 0, v[22:23]
	v_mad_u64_u32 v[16:17], s[4:5], s8, v2, v[16:17]
	v_add_co_u32_e32 v18, vcc, s3, v0
	v_add_u32_e32 v17, s2, v17
	s_nop 0
	v_addc_co_u32_e32 v19, vcc, 0, v1, vcc
	s_movk_i32 s3, 0x2000
	s_waitcnt vmcnt(0) lgkmcnt(0)
	v_mul_f64 v[8:9], v[14:15], v[6:7]
	v_mul_f64 v[6:7], v[12:13], v[6:7]
	v_fmac_f64_e32 v[8:9], v[12:13], v[4:5]
	v_fma_f64 v[6:7], v[4:5], v[14:15], -v[6:7]
	v_mul_f64 v[4:5], v[8:9], s[0:1]
	v_mul_f64 v[6:7], v[6:7], s[0:1]
	global_store_dwordx4 v[16:17], v[4:7], off
	global_load_dwordx4 v[4:7], v[18:19], off offset:384
	ds_read_b128 v[8:11], v53 offset:4480
	ds_read_b128 v[12:15], v53 offset:5600
	v_mad_u64_u32 v[16:17], s[4:5], s8, v2, v[16:17]
	v_add_u32_e32 v17, s2, v17
	s_waitcnt vmcnt(0) lgkmcnt(1)
	v_mul_f64 v[20:21], v[10:11], v[6:7]
	v_mul_f64 v[6:7], v[8:9], v[6:7]
	v_fmac_f64_e32 v[20:21], v[8:9], v[4:5]
	v_fma_f64 v[6:7], v[4:5], v[10:11], -v[6:7]
	v_mul_f64 v[4:5], v[20:21], s[0:1]
	v_mul_f64 v[6:7], v[6:7], s[0:1]
	global_store_dwordx4 v[16:17], v[4:7], off
	global_load_dwordx4 v[4:7], v[18:19], off offset:1504
	v_mad_u64_u32 v[16:17], s[4:5], s8, v2, v[16:17]
	v_add_u32_e32 v17, s2, v17
	s_waitcnt vmcnt(0) lgkmcnt(0)
	v_mul_f64 v[8:9], v[14:15], v[6:7]
	v_mul_f64 v[6:7], v[12:13], v[6:7]
	v_fmac_f64_e32 v[8:9], v[12:13], v[4:5]
	v_fma_f64 v[6:7], v[4:5], v[14:15], -v[6:7]
	v_mul_f64 v[4:5], v[8:9], s[0:1]
	v_mul_f64 v[6:7], v[6:7], s[0:1]
	global_store_dwordx4 v[16:17], v[4:7], off
	global_load_dwordx4 v[4:7], v[18:19], off offset:2624
	ds_read_b128 v[8:11], v53 offset:6720
	ds_read_b128 v[12:15], v53 offset:7840
	v_mad_u64_u32 v[16:17], s[4:5], s8, v2, v[16:17]
	v_add_u32_e32 v17, s2, v17
	s_waitcnt vmcnt(0) lgkmcnt(1)
	v_mul_f64 v[20:21], v[10:11], v[6:7]
	v_mul_f64 v[6:7], v[8:9], v[6:7]
	v_fmac_f64_e32 v[20:21], v[8:9], v[4:5]
	v_fma_f64 v[6:7], v[4:5], v[10:11], -v[6:7]
	v_mul_f64 v[4:5], v[20:21], s[0:1]
	v_mul_f64 v[6:7], v[6:7], s[0:1]
	global_store_dwordx4 v[16:17], v[4:7], off
	global_load_dwordx4 v[4:7], v[18:19], off offset:3744
	v_mad_u64_u32 v[16:17], s[4:5], s8, v2, v[16:17]
	v_add_co_u32_e32 v18, vcc, s3, v0
	v_add_u32_e32 v17, s2, v17
	s_nop 0
	v_addc_co_u32_e32 v19, vcc, 0, v1, vcc
	s_movk_i32 s3, 0x3000
	s_waitcnt vmcnt(0) lgkmcnt(0)
	v_mul_f64 v[8:9], v[14:15], v[6:7]
	v_mul_f64 v[6:7], v[12:13], v[6:7]
	v_fmac_f64_e32 v[8:9], v[12:13], v[4:5]
	v_fma_f64 v[6:7], v[4:5], v[14:15], -v[6:7]
	v_mul_f64 v[4:5], v[8:9], s[0:1]
	v_mul_f64 v[6:7], v[6:7], s[0:1]
	global_store_dwordx4 v[16:17], v[4:7], off
	global_load_dwordx4 v[4:7], v[18:19], off offset:768
	ds_read_b128 v[8:11], v53 offset:8960
	ds_read_b128 v[12:15], v53 offset:10080
	v_mad_u64_u32 v[16:17], s[4:5], s8, v2, v[16:17]
	v_add_u32_e32 v17, s2, v17
	s_waitcnt vmcnt(0) lgkmcnt(1)
	v_mul_f64 v[20:21], v[10:11], v[6:7]
	v_mul_f64 v[6:7], v[8:9], v[6:7]
	v_fmac_f64_e32 v[20:21], v[8:9], v[4:5]
	v_fma_f64 v[6:7], v[4:5], v[10:11], -v[6:7]
	v_mul_f64 v[4:5], v[20:21], s[0:1]
	v_mul_f64 v[6:7], v[6:7], s[0:1]
	global_store_dwordx4 v[16:17], v[4:7], off
	global_load_dwordx4 v[4:7], v[18:19], off offset:1888
	v_mad_u64_u32 v[16:17], s[4:5], s8, v2, v[16:17]
	v_add_u32_e32 v17, s2, v17
	s_waitcnt vmcnt(0) lgkmcnt(0)
	v_mul_f64 v[8:9], v[14:15], v[6:7]
	v_mul_f64 v[6:7], v[12:13], v[6:7]
	v_fmac_f64_e32 v[8:9], v[12:13], v[4:5]
	v_fma_f64 v[6:7], v[4:5], v[14:15], -v[6:7]
	v_mul_f64 v[4:5], v[8:9], s[0:1]
	v_mul_f64 v[6:7], v[6:7], s[0:1]
	global_store_dwordx4 v[16:17], v[4:7], off
	global_load_dwordx4 v[4:7], v[18:19], off offset:3008
	ds_read_b128 v[8:11], v53 offset:11200
	ds_read_b128 v[12:15], v53 offset:12320
	v_mad_u64_u32 v[16:17], s[4:5], s8, v2, v[16:17]
	v_add_co_u32_e32 v18, vcc, s3, v0
	v_add_u32_e32 v17, s2, v17
	s_nop 0
	v_addc_co_u32_e32 v19, vcc, 0, v1, vcc
	s_movk_i32 s3, 0x4000
	v_add_co_u32_e32 v0, vcc, s3, v0
	s_waitcnt vmcnt(0) lgkmcnt(1)
	v_mul_f64 v[20:21], v[10:11], v[6:7]
	v_mul_f64 v[6:7], v[8:9], v[6:7]
	v_fmac_f64_e32 v[20:21], v[8:9], v[4:5]
	v_fma_f64 v[6:7], v[4:5], v[10:11], -v[6:7]
	v_mul_f64 v[4:5], v[20:21], s[0:1]
	v_mul_f64 v[6:7], v[6:7], s[0:1]
	global_store_dwordx4 v[16:17], v[4:7], off
	global_load_dwordx4 v[4:7], v[18:19], off offset:32
	v_mad_u64_u32 v[16:17], s[4:5], s8, v2, v[16:17]
	v_add_u32_e32 v17, s2, v17
	v_addc_co_u32_e32 v1, vcc, 0, v1, vcc
	s_waitcnt vmcnt(0) lgkmcnt(0)
	v_mul_f64 v[8:9], v[14:15], v[6:7]
	v_mul_f64 v[6:7], v[12:13], v[6:7]
	v_fmac_f64_e32 v[8:9], v[12:13], v[4:5]
	v_fma_f64 v[6:7], v[4:5], v[14:15], -v[6:7]
	v_mul_f64 v[4:5], v[8:9], s[0:1]
	v_mul_f64 v[6:7], v[6:7], s[0:1]
	global_store_dwordx4 v[16:17], v[4:7], off
	global_load_dwordx4 v[4:7], v[18:19], off offset:1152
	ds_read_b128 v[8:11], v53 offset:13440
	ds_read_b128 v[12:15], v53 offset:14560
	v_mad_u64_u32 v[16:17], s[4:5], s8, v2, v[16:17]
	v_add_u32_e32 v17, s2, v17
	s_waitcnt vmcnt(0) lgkmcnt(1)
	v_mul_f64 v[20:21], v[10:11], v[6:7]
	v_mul_f64 v[6:7], v[8:9], v[6:7]
	v_fmac_f64_e32 v[20:21], v[8:9], v[4:5]
	v_fma_f64 v[6:7], v[4:5], v[10:11], -v[6:7]
	v_mul_f64 v[4:5], v[20:21], s[0:1]
	v_mul_f64 v[6:7], v[6:7], s[0:1]
	global_store_dwordx4 v[16:17], v[4:7], off
	global_load_dwordx4 v[4:7], v[18:19], off offset:2272
	v_mad_u64_u32 v[16:17], s[4:5], s8, v2, v[16:17]
	v_add_u32_e32 v17, s2, v17
	s_waitcnt vmcnt(0) lgkmcnt(0)
	v_mul_f64 v[8:9], v[14:15], v[6:7]
	v_mul_f64 v[6:7], v[12:13], v[6:7]
	v_fmac_f64_e32 v[8:9], v[12:13], v[4:5]
	v_fma_f64 v[6:7], v[4:5], v[14:15], -v[6:7]
	v_mul_f64 v[4:5], v[8:9], s[0:1]
	v_mul_f64 v[6:7], v[6:7], s[0:1]
	global_store_dwordx4 v[16:17], v[4:7], off
	global_load_dwordx4 v[4:7], v[18:19], off offset:3392
	ds_read_b128 v[8:11], v53 offset:15680
	ds_read_b128 v[12:15], v53 offset:16800
	v_mad_u64_u32 v[16:17], s[4:5], s8, v2, v[16:17]
	v_add_u32_e32 v17, s2, v17
	s_waitcnt vmcnt(0) lgkmcnt(1)
	v_mul_f64 v[18:19], v[10:11], v[6:7]
	v_mul_f64 v[6:7], v[8:9], v[6:7]
	v_fmac_f64_e32 v[18:19], v[8:9], v[4:5]
	v_fma_f64 v[6:7], v[4:5], v[10:11], -v[6:7]
	v_mul_f64 v[4:5], v[18:19], s[0:1]
	v_mul_f64 v[6:7], v[6:7], s[0:1]
	global_store_dwordx4 v[16:17], v[4:7], off
	global_load_dwordx4 v[4:7], v[0:1], off offset:416
	v_mad_u64_u32 v[16:17], s[4:5], s8, v2, v[16:17]
	v_add_u32_e32 v17, s2, v17
	s_waitcnt vmcnt(0) lgkmcnt(0)
	v_mul_f64 v[8:9], v[14:15], v[6:7]
	v_mul_f64 v[6:7], v[12:13], v[6:7]
	v_fmac_f64_e32 v[8:9], v[12:13], v[4:5]
	v_fma_f64 v[6:7], v[4:5], v[14:15], -v[6:7]
	v_mul_f64 v[4:5], v[8:9], s[0:1]
	v_mul_f64 v[6:7], v[6:7], s[0:1]
	global_store_dwordx4 v[16:17], v[4:7], off
	global_load_dwordx4 v[4:7], v[0:1], off offset:1536
	ds_read_b128 v[8:11], v53 offset:17920
	v_mad_u64_u32 v[12:13], s[4:5], s8, v2, v[16:17]
	v_add_u32_e32 v13, s2, v13
	s_waitcnt vmcnt(0) lgkmcnt(0)
	v_mul_f64 v[0:1], v[10:11], v[6:7]
	v_mul_f64 v[2:3], v[8:9], v[6:7]
	v_fmac_f64_e32 v[0:1], v[8:9], v[4:5]
	v_fma_f64 v[2:3], v[4:5], v[10:11], -v[2:3]
	v_mul_f64 v[0:1], v[0:1], s[0:1]
	v_mul_f64 v[2:3], v[2:3], s[0:1]
	global_store_dwordx4 v[12:13], v[0:3], off
.LBB0_23:
	s_endpgm
	.section	.rodata,"a",@progbits
	.p2align	6, 0x0
	.amdhsa_kernel bluestein_single_back_len1190_dim1_dp_op_CI_CI
		.amdhsa_group_segment_fixed_size 57120
		.amdhsa_private_segment_fixed_size 0
		.amdhsa_kernarg_size 104
		.amdhsa_user_sgpr_count 2
		.amdhsa_user_sgpr_dispatch_ptr 0
		.amdhsa_user_sgpr_queue_ptr 0
		.amdhsa_user_sgpr_kernarg_segment_ptr 1
		.amdhsa_user_sgpr_dispatch_id 0
		.amdhsa_user_sgpr_kernarg_preload_length 0
		.amdhsa_user_sgpr_kernarg_preload_offset 0
		.amdhsa_user_sgpr_private_segment_size 0
		.amdhsa_uses_dynamic_stack 0
		.amdhsa_enable_private_segment 0
		.amdhsa_system_sgpr_workgroup_id_x 1
		.amdhsa_system_sgpr_workgroup_id_y 0
		.amdhsa_system_sgpr_workgroup_id_z 0
		.amdhsa_system_sgpr_workgroup_info 0
		.amdhsa_system_vgpr_workitem_id 0
		.amdhsa_next_free_vgpr 392
		.amdhsa_next_free_sgpr 62
		.amdhsa_accum_offset 256
		.amdhsa_reserve_vcc 1
		.amdhsa_float_round_mode_32 0
		.amdhsa_float_round_mode_16_64 0
		.amdhsa_float_denorm_mode_32 3
		.amdhsa_float_denorm_mode_16_64 3
		.amdhsa_dx10_clamp 1
		.amdhsa_ieee_mode 1
		.amdhsa_fp16_overflow 0
		.amdhsa_tg_split 0
		.amdhsa_exception_fp_ieee_invalid_op 0
		.amdhsa_exception_fp_denorm_src 0
		.amdhsa_exception_fp_ieee_div_zero 0
		.amdhsa_exception_fp_ieee_overflow 0
		.amdhsa_exception_fp_ieee_underflow 0
		.amdhsa_exception_fp_ieee_inexact 0
		.amdhsa_exception_int_div_zero 0
	.end_amdhsa_kernel
	.text
.Lfunc_end0:
	.size	bluestein_single_back_len1190_dim1_dp_op_CI_CI, .Lfunc_end0-bluestein_single_back_len1190_dim1_dp_op_CI_CI
                                        ; -- End function
	.section	.AMDGPU.csdata,"",@progbits
; Kernel info:
; codeLenInByte = 29748
; NumSgprs: 68
; NumVgprs: 256
; NumAgprs: 136
; TotalNumVgprs: 392
; ScratchSize: 0
; MemoryBound: 0
; FloatMode: 240
; IeeeMode: 1
; LDSByteSize: 57120 bytes/workgroup (compile time only)
; SGPRBlocks: 8
; VGPRBlocks: 48
; NumSGPRsForWavesPerEU: 68
; NumVGPRsForWavesPerEU: 392
; AccumOffset: 256
; Occupancy: 1
; WaveLimiterHint : 1
; COMPUTE_PGM_RSRC2:SCRATCH_EN: 0
; COMPUTE_PGM_RSRC2:USER_SGPR: 2
; COMPUTE_PGM_RSRC2:TRAP_HANDLER: 0
; COMPUTE_PGM_RSRC2:TGID_X_EN: 1
; COMPUTE_PGM_RSRC2:TGID_Y_EN: 0
; COMPUTE_PGM_RSRC2:TGID_Z_EN: 0
; COMPUTE_PGM_RSRC2:TIDIG_COMP_CNT: 0
; COMPUTE_PGM_RSRC3_GFX90A:ACCUM_OFFSET: 63
; COMPUTE_PGM_RSRC3_GFX90A:TG_SPLIT: 0
	.text
	.p2alignl 6, 3212836864
	.fill 256, 4, 3212836864
	.type	__hip_cuid_82b155c8e7058330,@object ; @__hip_cuid_82b155c8e7058330
	.section	.bss,"aw",@nobits
	.globl	__hip_cuid_82b155c8e7058330
__hip_cuid_82b155c8e7058330:
	.byte	0                               ; 0x0
	.size	__hip_cuid_82b155c8e7058330, 1

	.ident	"AMD clang version 19.0.0git (https://github.com/RadeonOpenCompute/llvm-project roc-6.4.0 25133 c7fe45cf4b819c5991fe208aaa96edf142730f1d)"
	.section	".note.GNU-stack","",@progbits
	.addrsig
	.addrsig_sym __hip_cuid_82b155c8e7058330
	.amdgpu_metadata
---
amdhsa.kernels:
  - .agpr_count:     136
    .args:
      - .actual_access:  read_only
        .address_space:  global
        .offset:         0
        .size:           8
        .value_kind:     global_buffer
      - .actual_access:  read_only
        .address_space:  global
        .offset:         8
        .size:           8
        .value_kind:     global_buffer
      - .actual_access:  read_only
        .address_space:  global
        .offset:         16
        .size:           8
        .value_kind:     global_buffer
      - .actual_access:  read_only
        .address_space:  global
        .offset:         24
        .size:           8
        .value_kind:     global_buffer
      - .actual_access:  read_only
        .address_space:  global
        .offset:         32
        .size:           8
        .value_kind:     global_buffer
      - .offset:         40
        .size:           8
        .value_kind:     by_value
      - .address_space:  global
        .offset:         48
        .size:           8
        .value_kind:     global_buffer
      - .address_space:  global
        .offset:         56
        .size:           8
        .value_kind:     global_buffer
      - .address_space:  global
        .offset:         64
        .size:           8
        .value_kind:     global_buffer
      - .address_space:  global
        .offset:         72
        .size:           8
        .value_kind:     global_buffer
      - .offset:         80
        .size:           4
        .value_kind:     by_value
      - .address_space:  global
        .offset:         88
        .size:           8
        .value_kind:     global_buffer
      - .address_space:  global
        .offset:         96
        .size:           8
        .value_kind:     global_buffer
    .group_segment_fixed_size: 57120
    .kernarg_segment_align: 8
    .kernarg_segment_size: 104
    .language:       OpenCL C
    .language_version:
      - 2
      - 0
    .max_flat_workgroup_size: 255
    .name:           bluestein_single_back_len1190_dim1_dp_op_CI_CI
    .private_segment_fixed_size: 0
    .sgpr_count:     68
    .sgpr_spill_count: 0
    .symbol:         bluestein_single_back_len1190_dim1_dp_op_CI_CI.kd
    .uniform_work_group_size: 1
    .uses_dynamic_stack: false
    .vgpr_count:     392
    .vgpr_spill_count: 0
    .wavefront_size: 64
amdhsa.target:   amdgcn-amd-amdhsa--gfx950
amdhsa.version:
  - 1
  - 2
...

	.end_amdgpu_metadata
